;; amdgpu-corpus repo=ROCm/rocFFT kind=compiled arch=gfx906 opt=O3
	.text
	.amdgcn_target "amdgcn-amd-amdhsa--gfx906"
	.amdhsa_code_object_version 6
	.protected	bluestein_single_fwd_len4704_dim1_half_op_CI_CI ; -- Begin function bluestein_single_fwd_len4704_dim1_half_op_CI_CI
	.globl	bluestein_single_fwd_len4704_dim1_half_op_CI_CI
	.p2align	8
	.type	bluestein_single_fwd_len4704_dim1_half_op_CI_CI,@function
bluestein_single_fwd_len4704_dim1_half_op_CI_CI: ; @bluestein_single_fwd_len4704_dim1_half_op_CI_CI
; %bb.0:
	s_load_dwordx4 s[12:15], s[4:5], 0x28
	v_mul_u32_u24_e32 v1, 0x125, v0
	v_add_u32_sdwa v17, s6, v1 dst_sel:DWORD dst_unused:UNUSED_PAD src0_sel:DWORD src1_sel:WORD_1
	v_mov_b32_e32 v18, 0
	s_waitcnt lgkmcnt(0)
	v_cmp_gt_u64_e32 vcc, s[12:13], v[17:18]
	s_and_saveexec_b64 s[0:1], vcc
	s_cbranch_execz .LBB0_25
; %bb.1:
	s_load_dwordx4 s[8:11], s[4:5], 0x18
	s_load_dwordx2 s[16:17], s[4:5], 0x0
	s_movk_i32 s6, 0xe0
	v_mul_lo_u16_sdwa v1, v1, s6 dst_sel:DWORD dst_unused:UNUSED_PAD src0_sel:WORD_1 src1_sel:DWORD
	v_sub_u16_e32 v69, v0, v1
	s_waitcnt lgkmcnt(0)
	s_load_dwordx4 s[0:3], s[8:9], 0x0
	v_lshlrev_b32_e32 v54, 2, v69
	global_load_dword v71, v54, s[16:17]
	s_load_dwordx2 s[12:13], s[4:5], 0x38
	s_waitcnt lgkmcnt(0)
	v_mad_u64_u32 v[0:1], s[6:7], s2, v17, 0
	v_mad_u64_u32 v[2:3], s[6:7], s0, v69, 0
	v_add_co_u32_e64 v15, s[6:7], s16, v54
	v_mad_u64_u32 v[4:5], s[2:3], s3, v17, v[1:2]
	v_mad_u64_u32 v[5:6], s[2:3], s1, v69, v[3:4]
	v_mov_b32_e32 v1, v4
	v_lshlrev_b64 v[0:1], 2, v[0:1]
	v_mov_b32_e32 v6, s15
	v_mov_b32_e32 v3, v5
	v_add_co_u32_e32 v4, vcc, s14, v0
	v_addc_co_u32_e32 v5, vcc, v6, v1, vcc
	v_lshlrev_b64 v[0:1], 2, v[2:3]
	s_mul_i32 s2, s1, 0x24c
	s_mul_hi_u32 s3, s0, 0x24c
	v_add_co_u32_e32 v0, vcc, v4, v0
	v_mov_b32_e32 v2, s17
	s_add_i32 s3, s3, s2
	s_mul_i32 s2, s0, 0x24c
	v_addc_co_u32_e32 v1, vcc, v5, v1, vcc
	v_addc_co_u32_e64 v16, vcc, 0, v2, s[6:7]
	s_lshl_b64 s[14:15], s[2:3], 2
	v_mov_b32_e32 v10, s15
	v_add_co_u32_e32 v2, vcc, s14, v0
	v_addc_co_u32_e32 v3, vcc, v1, v10, vcc
	global_load_dword v8, v[0:1], off
	global_load_dword v9, v[2:3], off
	global_load_dword v70, v54, s[16:17] offset:2352
	v_add_co_u32_e32 v2, vcc, s14, v2
	v_addc_co_u32_e32 v3, vcc, v3, v10, vcc
	s_movk_i32 s2, 0x1000
	v_add_co_u32_e32 v0, vcc, s2, v15
	global_load_dword v11, v[2:3], off
	v_addc_co_u32_e32 v1, vcc, 0, v16, vcc
	global_load_dword v67, v[0:1], off offset:608
	v_add_co_u32_e32 v4, vcc, s14, v2
	s_movk_i32 s2, 0x2000
	v_addc_co_u32_e32 v5, vcc, v3, v10, vcc
	v_add_co_u32_e32 v2, vcc, s2, v15
	v_addc_co_u32_e32 v3, vcc, 0, v16, vcc
	s_load_dwordx4 s[8:11], s[10:11], 0x0
	global_load_dword v61, v54, s[16:17] offset:3248
	global_load_dword v62, v54, s[16:17] offset:896
	global_load_dword v12, v[4:5], off
	v_add_co_u32_e32 v4, vcc, s14, v4
	v_addc_co_u32_e32 v5, vcc, v5, v10, vcc
	global_load_dword v66, v[2:3], off offset:1216
	global_load_dword v65, v[2:3], off offset:3568
	;; [unrolled: 1-line block ×5, first 2 shown]
	global_load_dword v13, v[4:5], off
	v_add_co_u32_e32 v4, vcc, s14, v4
	v_addc_co_u32_e32 v5, vcc, v5, v10, vcc
	v_add_co_u32_e32 v6, vcc, s14, v4
	global_load_dword v14, v[4:5], off
	v_addc_co_u32_e32 v7, vcc, v5, v10, vcc
	s_movk_i32 s3, 0x3000
	global_load_dword v18, v[6:7], off
	s_movk_i32 s2, 0x4000
	s_mulk_i32 s1, 0xf0cc
	s_waitcnt vmcnt(15)
	v_lshrrev_b32_e32 v4, 16, v8
	v_mul_f16_sdwa v5, v71, v8 dst_sel:DWORD dst_unused:UNUSED_PAD src0_sel:WORD_1 src1_sel:DWORD
	v_mul_f16_sdwa v19, v71, v4 dst_sel:DWORD dst_unused:UNUSED_PAD src0_sel:WORD_1 src1_sel:DWORD
	v_fma_f16 v4, v71, v4, -v5
	s_waitcnt vmcnt(14)
	v_lshrrev_b32_e32 v5, 16, v9
	s_waitcnt vmcnt(13)
	v_mul_f16_sdwa v20, v70, v9 dst_sel:DWORD dst_unused:UNUSED_PAD src0_sel:WORD_1 src1_sel:DWORD
	v_fma_f16 v8, v71, v8, v19
	v_mul_f16_sdwa v19, v70, v5 dst_sel:DWORD dst_unused:UNUSED_PAD src0_sel:WORD_1 src1_sel:DWORD
	v_fma_f16 v5, v70, v5, -v20
	v_pack_b32_f16 v21, v8, v4
	v_fma_f16 v4, v70, v9, v19
	v_pack_b32_f16 v4, v4, v5
	ds_write_b32 v54, v4 offset:2352
	v_add_co_u32_e32 v4, vcc, s3, v15
	v_addc_co_u32_e32 v5, vcc, 0, v16, vcc
	v_add_co_u32_e32 v6, vcc, s14, v6
	global_load_dword v64, v[4:5], off offset:1824
	v_addc_co_u32_e32 v7, vcc, v7, v10, vcc
	v_add_co_u32_e32 v8, vcc, s2, v15
	s_mul_hi_u32 s2, s0, 0xfffff0cc
	s_sub_i32 s2, s2, s0
	global_load_dword v22, v[6:7], off
	v_addc_co_u32_e32 v9, vcc, 0, v16, vcc
	s_add_i32 s1, s2, s1
	s_mulk_i32 s0, 0xf0cc
	global_load_dword v63, v[8:9], off offset:80
	s_lshl_b64 s[18:19], s[0:1], 2
	v_mov_b32_e32 v23, s19
	v_add_co_u32_e32 v6, vcc, s18, v6
	v_addc_co_u32_e32 v7, vcc, v7, v23, vcc
	global_load_dword v23, v[6:7], off
	v_add_co_u32_e32 v6, vcc, s14, v6
	v_addc_co_u32_e32 v7, vcc, v7, v10, vcc
	s_waitcnt vmcnt(16)
	v_lshrrev_b32_e32 v20, 16, v11
	global_load_dword v24, v[6:7], off
	s_waitcnt vmcnt(16)
	v_mul_f16_sdwa v19, v67, v20 dst_sel:DWORD dst_unused:UNUSED_PAD src0_sel:WORD_1 src1_sel:DWORD
	v_fma_f16 v19, v67, v11, v19
	v_mul_f16_sdwa v11, v67, v11 dst_sel:DWORD dst_unused:UNUSED_PAD src0_sel:WORD_1 src1_sel:DWORD
	v_add_co_u32_e32 v6, vcc, s14, v6
	v_fma_f16 v11, v67, v20, -v11
	v_addc_co_u32_e32 v7, vcc, v7, v10, vcc
	v_pack_b32_f16 v11, v19, v11
	global_load_dword v19, v[6:7], off
	v_add_co_u32_e32 v6, vcc, s14, v6
	v_addc_co_u32_e32 v7, vcc, v7, v10, vcc
	global_load_dword v20, v[6:7], off
	v_add_co_u32_e32 v6, vcc, s14, v6
	ds_write_b32 v54, v11 offset:4704
	v_addc_co_u32_e32 v7, vcc, v7, v10, vcc
	global_load_dword v26, v[6:7], off
	global_load_dword v58, v[2:3], off offset:2112
	v_add_co_u32_e32 v6, vcc, s14, v6
	v_addc_co_u32_e32 v7, vcc, v7, v10, vcc
	global_load_dword v27, v[6:7], off
	global_load_dword v56, v[4:5], off offset:2720
	global_load_dword v57, v[4:5], off offset:368
	v_add_co_u32_e32 v6, vcc, s14, v6
	v_addc_co_u32_e32 v7, vcc, v7, v10, vcc
	global_load_dword v28, v[6:7], off
	v_add_co_u32_e32 v6, vcc, s14, v6
	v_addc_co_u32_e32 v7, vcc, v7, v10, vcc
	global_load_dword v10, v[6:7], off
	global_load_dword v55, v[8:9], off offset:976
	s_waitcnt vmcnt(23)
	v_lshrrev_b32_e32 v11, 16, v12
	s_waitcnt vmcnt(19)
	v_mul_f16_sdwa v25, v68, v11 dst_sel:DWORD dst_unused:UNUSED_PAD src0_sel:WORD_1 src1_sel:DWORD
	v_fma_f16 v25, v68, v12, v25
	v_mul_f16_sdwa v12, v68, v12 dst_sel:DWORD dst_unused:UNUSED_PAD src0_sel:WORD_1 src1_sel:DWORD
	v_fma_f16 v11, v68, v11, -v12
	v_pack_b32_f16 v11, v25, v11
	s_waitcnt vmcnt(17)
	v_lshrrev_b32_e32 v8, 16, v13
	ds_write_b32 v54, v11 offset:7056
	v_mul_f16_sdwa v9, v66, v8 dst_sel:DWORD dst_unused:UNUSED_PAD src0_sel:WORD_1 src1_sel:DWORD
	v_mul_f16_sdwa v11, v66, v13 dst_sel:DWORD dst_unused:UNUSED_PAD src0_sel:WORD_1 src1_sel:DWORD
	v_fma_f16 v9, v66, v13, v9
	v_fma_f16 v8, v66, v8, -v11
	v_pack_b32_f16 v8, v9, v8
	ds_write_b32 v54, v8 offset:9408
	s_waitcnt vmcnt(16)
	v_lshrrev_b32_e32 v8, 16, v14
	v_mul_f16_sdwa v9, v65, v8 dst_sel:DWORD dst_unused:UNUSED_PAD src0_sel:WORD_1 src1_sel:DWORD
	v_mul_f16_sdwa v11, v65, v14 dst_sel:DWORD dst_unused:UNUSED_PAD src0_sel:WORD_1 src1_sel:DWORD
	v_fma_f16 v9, v65, v14, v9
	v_fma_f16 v8, v65, v8, -v11
	v_pack_b32_f16 v8, v9, v8
	ds_write_b32 v54, v8 offset:11760
	s_waitcnt vmcnt(15)
	v_lshrrev_b32_e32 v8, 16, v18
	s_waitcnt vmcnt(14)
	v_mul_f16_sdwa v9, v64, v8 dst_sel:DWORD dst_unused:UNUSED_PAD src0_sel:WORD_1 src1_sel:DWORD
	v_mul_f16_sdwa v11, v64, v18 dst_sel:DWORD dst_unused:UNUSED_PAD src0_sel:WORD_1 src1_sel:DWORD
	v_fma_f16 v9, v64, v18, v9
	v_fma_f16 v8, v64, v8, -v11
	v_pack_b32_f16 v8, v9, v8
	ds_write_b32 v54, v8 offset:14112
	s_waitcnt vmcnt(13)
	v_lshrrev_b32_e32 v8, 16, v22
	s_movk_i32 s0, 0x8b
	s_waitcnt vmcnt(12)
	v_mul_f16_sdwa v9, v63, v8 dst_sel:DWORD dst_unused:UNUSED_PAD src0_sel:WORD_1 src1_sel:DWORD
	v_mul_f16_sdwa v11, v63, v22 dst_sel:DWORD dst_unused:UNUSED_PAD src0_sel:WORD_1 src1_sel:DWORD
	v_fma_f16 v9, v63, v22, v9
	v_fma_f16 v8, v63, v8, -v11
	v_pack_b32_f16 v8, v9, v8
	ds_write_b32 v54, v8 offset:16464
	v_cmp_lt_u16_e64 s[2:3], s0, v69
	s_waitcnt vmcnt(11)
	v_lshrrev_b32_e32 v8, 16, v23
	v_mul_f16_sdwa v9, v62, v8 dst_sel:DWORD dst_unused:UNUSED_PAD src0_sel:WORD_1 src1_sel:DWORD
	v_mul_f16_sdwa v11, v62, v23 dst_sel:DWORD dst_unused:UNUSED_PAD src0_sel:WORD_1 src1_sel:DWORD
	v_fma_f16 v9, v62, v23, v9
	v_fma_f16 v8, v62, v8, -v11
	v_pack_b32_f16 v8, v9, v8
	ds_write2_b32 v54, v21, v8 offset1:224
	s_waitcnt vmcnt(10)
	v_lshrrev_b32_e32 v8, 16, v24
	v_mul_f16_sdwa v9, v61, v8 dst_sel:DWORD dst_unused:UNUSED_PAD src0_sel:WORD_1 src1_sel:DWORD
	v_mul_f16_sdwa v11, v61, v24 dst_sel:DWORD dst_unused:UNUSED_PAD src0_sel:WORD_1 src1_sel:DWORD
	v_fma_f16 v9, v61, v24, v9
	v_fma_f16 v8, v61, v8, -v11
	v_pack_b32_f16 v8, v9, v8
	ds_write_b32 v54, v8 offset:3248
	s_movk_i32 s0, 0x8c
	v_cmp_gt_u16_e64 s[0:1], s0, v69
	s_waitcnt vmcnt(9)
	v_lshrrev_b32_e32 v8, 16, v19
	v_mul_f16_sdwa v9, v60, v8 dst_sel:DWORD dst_unused:UNUSED_PAD src0_sel:WORD_1 src1_sel:DWORD
	v_mul_f16_sdwa v11, v60, v19 dst_sel:DWORD dst_unused:UNUSED_PAD src0_sel:WORD_1 src1_sel:DWORD
	v_fma_f16 v9, v60, v19, v9
	v_fma_f16 v8, v60, v8, -v11
	v_pack_b32_f16 v8, v9, v8
	ds_write_b32 v54, v8 offset:5600
	s_waitcnt vmcnt(8)
	v_lshrrev_b32_e32 v8, 16, v20
	v_mul_f16_sdwa v9, v59, v8 dst_sel:DWORD dst_unused:UNUSED_PAD src0_sel:WORD_1 src1_sel:DWORD
	v_mul_f16_sdwa v11, v59, v20 dst_sel:DWORD dst_unused:UNUSED_PAD src0_sel:WORD_1 src1_sel:DWORD
	v_fma_f16 v9, v59, v20, v9
	v_fma_f16 v8, v59, v8, -v11
	v_pack_b32_f16 v8, v9, v8
	ds_write_b32 v54, v8 offset:7952
	s_waitcnt vmcnt(7)
	v_lshrrev_b32_e32 v8, 16, v26
	s_waitcnt vmcnt(6)
	v_mul_f16_sdwa v9, v58, v8 dst_sel:DWORD dst_unused:UNUSED_PAD src0_sel:WORD_1 src1_sel:DWORD
	v_mul_f16_sdwa v11, v58, v26 dst_sel:DWORD dst_unused:UNUSED_PAD src0_sel:WORD_1 src1_sel:DWORD
	v_fma_f16 v9, v58, v26, v9
	v_fma_f16 v8, v58, v8, -v11
	v_pack_b32_f16 v8, v9, v8
	ds_write_b32 v54, v8 offset:10304
	s_waitcnt vmcnt(5)
	v_lshrrev_b32_e32 v8, 16, v27
	s_waitcnt vmcnt(3)
	v_mul_f16_sdwa v9, v57, v8 dst_sel:DWORD dst_unused:UNUSED_PAD src0_sel:WORD_1 src1_sel:DWORD
	v_mul_f16_sdwa v11, v57, v27 dst_sel:DWORD dst_unused:UNUSED_PAD src0_sel:WORD_1 src1_sel:DWORD
	v_fma_f16 v9, v57, v27, v9
	v_fma_f16 v8, v57, v8, -v11
	v_pack_b32_f16 v8, v9, v8
	ds_write_b32 v54, v8 offset:12656
	s_waitcnt vmcnt(2)
	v_lshrrev_b32_e32 v8, 16, v28
	v_mul_f16_sdwa v9, v56, v8 dst_sel:DWORD dst_unused:UNUSED_PAD src0_sel:WORD_1 src1_sel:DWORD
	v_mul_f16_sdwa v11, v56, v28 dst_sel:DWORD dst_unused:UNUSED_PAD src0_sel:WORD_1 src1_sel:DWORD
	v_fma_f16 v9, v56, v28, v9
	v_fma_f16 v8, v56, v8, -v11
	v_pack_b32_f16 v8, v9, v8
	ds_write_b32 v54, v8 offset:15008
	s_waitcnt vmcnt(1)
	v_lshrrev_b32_e32 v8, 16, v10
	s_waitcnt vmcnt(0)
	v_mul_f16_sdwa v9, v55, v8 dst_sel:DWORD dst_unused:UNUSED_PAD src0_sel:WORD_1 src1_sel:DWORD
	v_fma_f16 v9, v55, v10, v9
	v_mul_f16_sdwa v10, v55, v10 dst_sel:DWORD dst_unused:UNUSED_PAD src0_sel:WORD_1 src1_sel:DWORD
	v_fma_f16 v8, v55, v8, -v10
	v_pack_b32_f16 v8, v9, v8
	ds_write_b32 v54, v8 offset:17360
	s_and_saveexec_b64 s[20:21], s[0:1]
	s_cbranch_execz .LBB0_3
; %bb.2:
	v_mov_b32_e32 v8, s19
	v_add_co_u32_e32 v6, vcc, s18, v6
	v_addc_co_u32_e32 v7, vcc, v7, v8, vcc
	global_load_dword v8, v[6:7], off
	global_load_dword v9, v[15:16], off offset:1792
	v_mov_b32_e32 v10, s15
	v_add_co_u32_e32 v6, vcc, s14, v6
	v_addc_co_u32_e32 v7, vcc, v7, v10, vcc
	global_load_dword v11, v[6:7], off
	global_load_dword v12, v[0:1], off offset:48
	v_add_co_u32_e32 v6, vcc, s14, v6
	v_addc_co_u32_e32 v7, vcc, v7, v10, vcc
	global_load_dword v13, v[6:7], off
	global_load_dword v14, v[0:1], off offset:2400
	;; [unrolled: 4-line block ×6, first 2 shown]
	v_add_co_u32_e32 v0, vcc, s14, v0
	v_addc_co_u32_e32 v1, vcc, v1, v10, vcc
	global_load_dword v4, v[0:1], off
	v_add_co_u32_e32 v0, vcc, 0x4000, v15
	v_addc_co_u32_e32 v1, vcc, 0, v16, vcc
	global_load_dword v0, v[0:1], off offset:1872
	s_waitcnt vmcnt(15)
	v_lshrrev_b32_e32 v1, 16, v8
	s_waitcnt vmcnt(14)
	v_mul_f16_sdwa v5, v9, v8 dst_sel:DWORD dst_unused:UNUSED_PAD src0_sel:WORD_1 src1_sel:DWORD
	v_mul_f16_sdwa v10, v9, v1 dst_sel:DWORD dst_unused:UNUSED_PAD src0_sel:WORD_1 src1_sel:DWORD
	v_fma_f16 v1, v9, v1, -v5
	v_fma_f16 v8, v9, v8, v10
	v_pack_b32_f16 v1, v8, v1
	s_waitcnt vmcnt(13)
	v_lshrrev_b32_e32 v5, 16, v11
	s_waitcnt vmcnt(12)
	v_mul_f16_sdwa v22, v12, v11 dst_sel:DWORD dst_unused:UNUSED_PAD src0_sel:WORD_1 src1_sel:DWORD
	v_mul_f16_sdwa v9, v12, v5 dst_sel:DWORD dst_unused:UNUSED_PAD src0_sel:WORD_1 src1_sel:DWORD
	v_fma_f16 v5, v12, v5, -v22
	v_fma_f16 v8, v12, v11, v9
	s_waitcnt vmcnt(11)
	v_lshrrev_b32_e32 v10, 16, v13
	s_waitcnt vmcnt(10)
	v_mul_f16_sdwa v22, v14, v13 dst_sel:DWORD dst_unused:UNUSED_PAD src0_sel:WORD_1 src1_sel:DWORD
	v_mul_f16_sdwa v9, v14, v10 dst_sel:DWORD dst_unused:UNUSED_PAD src0_sel:WORD_1 src1_sel:DWORD
	v_fma_f16 v10, v14, v10, -v22
	ds_write_b32 v54, v1 offset:1792
	s_waitcnt vmcnt(9)
	v_lshrrev_b32_e32 v11, 16, v6
	s_waitcnt vmcnt(8)
	v_mul_f16_sdwa v12, v7, v6 dst_sel:DWORD dst_unused:UNUSED_PAD src0_sel:WORD_1 src1_sel:DWORD
	v_pack_b32_f16 v1, v8, v5
	v_fma_f16 v5, v14, v13, v9
	v_mul_f16_sdwa v8, v7, v11 dst_sel:DWORD dst_unused:UNUSED_PAD src0_sel:WORD_1 src1_sel:DWORD
	v_fma_f16 v9, v7, v11, -v12
	s_waitcnt vmcnt(7)
	v_lshrrev_b32_e32 v11, 16, v18
	s_waitcnt vmcnt(6)
	v_mul_f16_sdwa v12, v19, v18 dst_sel:DWORD dst_unused:UNUSED_PAD src0_sel:WORD_1 src1_sel:DWORD
	ds_write_b32 v54, v1 offset:4144
	v_pack_b32_f16 v1, v5, v10
	v_fma_f16 v5, v7, v6, v8
	v_mul_f16_sdwa v6, v19, v11 dst_sel:DWORD dst_unused:UNUSED_PAD src0_sel:WORD_1 src1_sel:DWORD
	v_fma_f16 v7, v19, v11, -v12
	ds_write_b32 v54, v1 offset:6496
	v_pack_b32_f16 v1, v5, v9
	v_fma_f16 v5, v19, v18, v6
	s_waitcnt vmcnt(5)
	v_lshrrev_b32_e32 v8, 16, v2
	ds_write_b32 v54, v1 offset:8848
	v_pack_b32_f16 v1, v5, v7
	ds_write_b32 v54, v1 offset:11200
	s_waitcnt vmcnt(4)
	v_mul_f16_sdwa v1, v3, v8 dst_sel:DWORD dst_unused:UNUSED_PAD src0_sel:WORD_1 src1_sel:DWORD
	v_fma_f16 v1, v3, v2, v1
	v_mul_f16_sdwa v2, v3, v2 dst_sel:DWORD dst_unused:UNUSED_PAD src0_sel:WORD_1 src1_sel:DWORD
	v_fma_f16 v2, v3, v8, -v2
	v_pack_b32_f16 v1, v1, v2
	ds_write_b32 v54, v1 offset:13552
	s_waitcnt vmcnt(3)
	v_lshrrev_b32_e32 v1, 16, v20
	s_waitcnt vmcnt(2)
	v_mul_f16_sdwa v2, v21, v1 dst_sel:DWORD dst_unused:UNUSED_PAD src0_sel:WORD_1 src1_sel:DWORD
	v_mul_f16_sdwa v3, v21, v20 dst_sel:DWORD dst_unused:UNUSED_PAD src0_sel:WORD_1 src1_sel:DWORD
	v_fma_f16 v2, v21, v20, v2
	v_fma_f16 v1, v21, v1, -v3
	v_pack_b32_f16 v1, v2, v1
	ds_write_b32 v54, v1 offset:15904
	s_waitcnt vmcnt(1)
	v_lshrrev_b32_e32 v1, 16, v4
	s_waitcnt vmcnt(0)
	v_mul_f16_sdwa v2, v0, v1 dst_sel:DWORD dst_unused:UNUSED_PAD src0_sel:WORD_1 src1_sel:DWORD
	v_mul_f16_sdwa v3, v0, v4 dst_sel:DWORD dst_unused:UNUSED_PAD src0_sel:WORD_1 src1_sel:DWORD
	v_fma_f16 v2, v0, v4, v2
	v_fma_f16 v0, v0, v1, -v3
	v_pack_b32_f16 v0, v2, v0
	ds_write_b32 v54, v0 offset:18256
.LBB0_3:
	s_or_b64 exec, exec, s[20:21]
	v_add_u32_e32 v2, 0x900, v54
	v_add_u32_e32 v4, 0x1200, v54
	v_add_u32_e32 v6, 0x1b80, v54
	v_add_u32_e32 v8, 0x2480, v54
	v_add_u32_e32 v10, 0x2d80, v54
	v_add_u32_e32 v12, 0x3700, v54
	v_add_u32_e32 v14, 0x4000, v54
	s_waitcnt lgkmcnt(0)
	s_barrier
	ds_read2_b32 v[0:1], v54 offset1:224
	ds_read2_b32 v[2:3], v2 offset0:12 offset1:236
	ds_read2_b32 v[4:5], v4 offset0:24 offset1:248
	;; [unrolled: 1-line block ×7, first 2 shown]
                                        ; implicit-def: $vgpr14
                                        ; implicit-def: $vgpr23
                                        ; implicit-def: $vgpr20
                                        ; implicit-def: $vgpr25
                                        ; implicit-def: $vgpr21
                                        ; implicit-def: $vgpr26
                                        ; implicit-def: $vgpr22
                                        ; implicit-def: $vgpr27
	s_and_saveexec_b64 s[14:15], s[0:1]
	s_cbranch_execz .LBB0_5
; %bb.4:
	ds_read_b32 v14, v54 offset:1792
	ds_read_b32 v21, v54 offset:4144
	;; [unrolled: 1-line block ×8, first 2 shown]
.LBB0_5:
	s_or_b64 exec, exec, s[14:15]
	s_waitcnt lgkmcnt(3)
	v_pk_add_f16 v32, v0, v8 neg_lo:[0,1] neg_hi:[0,1]
	s_waitcnt lgkmcnt(2)
	v_pk_add_f16 v34, v2, v10 neg_lo:[0,1] neg_hi:[0,1]
	;; [unrolled: 2-line block ×4, first 2 shown]
	v_lshrrev_b32_e32 v10, 16, v32
	v_lshrrev_b32_e32 v30, 16, v34
	v_sub_f16_sdwa v8, v32, v33 dst_sel:DWORD dst_unused:UNUSED_PAD src0_sel:DWORD src1_sel:WORD_1
	v_add_f16_e32 v12, v10, v33
	v_sub_f16_sdwa v29, v34, v35 dst_sel:DWORD dst_unused:UNUSED_PAD src0_sel:DWORD src1_sel:WORD_1
	v_add_f16_e32 v31, v30, v35
	s_movk_i32 s14, 0x1c0
	v_fma_f16 v18, v32, 2.0, -v8
	v_fma_f16 v10, v10, 2.0, -v12
	;; [unrolled: 1-line block ×4, first 2 shown]
	s_mov_b32 s15, 0xb9a8
	v_add_co_u32_e32 v28, vcc, s14, v69
	v_fma_f16 v37, v36, s15, v18
	v_fma_f16 v38, v30, s15, v10
	s_movk_i32 s14, 0x39a8
	v_fma_f16 v37, v30, s15, v37
	v_fma_f16 v38, v36, s14, v38
	v_pk_add_f16 v44, v1, v9 neg_lo:[0,1] neg_hi:[0,1]
	v_pk_add_f16 v46, v3, v11 neg_lo:[0,1] neg_hi:[0,1]
	v_fma_f16 v39, v18, 2.0, -v37
	v_fma_f16 v40, v10, 2.0, -v38
	v_fma_f16 v10, v29, s14, v8
	v_fma_f16 v18, v31, s14, v12
	v_pk_add_f16 v45, v5, v13 neg_lo:[0,1] neg_hi:[0,1]
	v_pk_add_f16 v47, v7, v19 neg_lo:[0,1] neg_hi:[0,1]
	v_lshrrev_b32_e32 v9, 16, v44
	v_lshrrev_b32_e32 v13, 16, v46
	v_pk_fma_f16 v0, v0, 2.0, v32 op_sel_hi:[1,0,1] neg_lo:[0,0,1] neg_hi:[0,0,1]
	v_pk_fma_f16 v4, v4, 2.0, v33 op_sel_hi:[1,0,1] neg_lo:[0,0,1] neg_hi:[0,0,1]
	;; [unrolled: 1-line block ×4, first 2 shown]
	v_fma_f16 v41, v31, s15, v10
	v_fma_f16 v42, v29, s14, v18
	v_add_f16_e32 v10, v9, v45
	v_add_f16_e32 v18, v13, v47
	v_pk_add_f16 v4, v0, v4 neg_lo:[0,1] neg_hi:[0,1]
	v_pk_add_f16 v6, v2, v6 neg_lo:[0,1] neg_hi:[0,1]
	v_fma_f16 v36, v8, 2.0, -v41
	v_fma_f16 v43, v12, 2.0, -v42
	v_sub_f16_sdwa v8, v44, v45 dst_sel:DWORD dst_unused:UNUSED_PAD src0_sel:DWORD src1_sel:WORD_1
	v_fma_f16 v9, v9, 2.0, -v10
	v_sub_f16_sdwa v12, v46, v47 dst_sel:DWORD dst_unused:UNUSED_PAD src0_sel:DWORD src1_sel:WORD_1
	v_fma_f16 v13, v13, 2.0, -v18
	v_pk_fma_f16 v0, v0, 2.0, v4 op_sel_hi:[1,0,1] neg_lo:[0,0,1] neg_hi:[0,0,1]
	v_pk_fma_f16 v2, v2, 2.0, v6 op_sel_hi:[1,0,1] neg_lo:[0,0,1] neg_hi:[0,0,1]
	v_fma_f16 v11, v44, 2.0, -v8
	v_fma_f16 v19, v46, 2.0, -v12
	v_fma_f16 v30, v13, s15, v9
	v_pk_add_f16 v32, v0, v2 neg_lo:[0,1] neg_hi:[0,1]
	v_lshrrev_b32_e32 v2, 16, v4
	v_fma_f16 v29, v19, s15, v11
	v_fma_f16 v49, v19, s14, v30
	v_pk_fma_f16 v33, v0, 2.0, v32 op_sel_hi:[1,0,1] neg_lo:[0,0,1] neg_hi:[0,0,1]
	v_sub_f16_sdwa v0, v4, v6 dst_sel:DWORD dst_unused:UNUSED_PAD src0_sel:DWORD src1_sel:WORD_1
	v_add_f16_e32 v6, v2, v6
	v_fma_f16 v48, v13, s15, v29
	v_fma_f16 v51, v9, 2.0, -v49
	v_fma_f16 v9, v12, s14, v8
	v_fma_f16 v4, v4, 2.0, -v0
	v_fma_f16 v2, v2, 2.0, -v6
	;; [unrolled: 1-line block ×3, first 2 shown]
	v_fma_f16 v11, v18, s14, v10
	v_fma_f16 v52, v18, s15, v9
	v_lshlrev_b32_e32 v73, 5, v69
	v_pack_b32_f16 v36, v36, v43
	v_pack_b32_f16 v35, v4, v2
	;; [unrolled: 1-line block ×3, first 2 shown]
	v_fma_f16 v53, v12, s14, v11
	v_fma_f16 v72, v8, 2.0, -v52
	v_pk_add_f16 v8, v14, v23 neg_lo:[0,1] neg_hi:[0,1]
	v_pk_add_f16 v11, v20, v25 neg_lo:[0,1] neg_hi:[0,1]
	s_barrier
	ds_write_b128 v73, v[33:36]
	v_pack_b32_f16 v34, v0, v6
	v_pk_fma_f16 v0, v1, 2.0, v44 op_sel_hi:[1,0,1] neg_lo:[0,0,1] neg_hi:[0,0,1]
	v_pk_fma_f16 v1, v5, 2.0, v45 op_sel_hi:[1,0,1] neg_lo:[0,0,1] neg_hi:[0,0,1]
	;; [unrolled: 1-line block ×4, first 2 shown]
	v_pk_add_f16 v23, v21, v26 neg_lo:[0,1] neg_hi:[0,1]
	v_pk_add_f16 v25, v22, v27 neg_lo:[0,1] neg_hi:[0,1]
	v_sub_f16_sdwa v9, v8, v11 dst_sel:DWORD dst_unused:UNUSED_PAD src0_sel:DWORD src1_sel:WORD_1
	v_lshrrev_b32_e32 v13, 16, v8
	v_pk_add_f16 v4, v0, v1 neg_lo:[0,1] neg_hi:[0,1]
	v_pk_add_f16 v3, v2, v3 neg_lo:[0,1] neg_hi:[0,1]
	v_fma_f16 v75, v10, 2.0, -v53
	v_add_f16_e32 v10, v11, v13
	v_fma_f16 v12, v8, 2.0, -v9
	v_pk_fma_f16 v8, v14, 2.0, v8 op_sel_hi:[1,0,1] neg_lo:[0,0,1] neg_hi:[0,0,1]
	v_pk_fma_f16 v11, v20, 2.0, v11 op_sel_hi:[1,0,1] neg_lo:[0,0,1] neg_hi:[0,0,1]
	;; [unrolled: 1-line block ×6, first 2 shown]
	v_lshrrev_b32_e32 v2, 16, v4
	v_pk_add_f16 v14, v8, v11 neg_lo:[0,1] neg_hi:[0,1]
	v_pk_add_f16 v22, v18, v19 neg_lo:[0,1] neg_hi:[0,1]
	v_lshrrev_b32_e32 v11, 16, v23
	v_sub_f16_sdwa v5, v4, v3 dst_sel:DWORD dst_unused:UNUSED_PAD src0_sel:DWORD src1_sel:WORD_1
	v_add_f16_e32 v6, v2, v3
	v_add_co_u32_e32 v24, vcc, 0xe0, v69
	v_pk_fma_f16 v19, v18, 2.0, v22 op_sel_hi:[1,0,1] neg_lo:[0,0,1] neg_hi:[0,0,1]
	v_sub_f16_sdwa v18, v23, v25 dst_sel:DWORD dst_unused:UNUSED_PAD src0_sel:DWORD src1_sel:WORD_1
	v_add_f16_e32 v20, v25, v11
	v_pk_add_f16 v0, v1, v0 neg_lo:[0,1] neg_hi:[0,1]
	v_fma_f16 v3, v4, 2.0, -v5
	v_fma_f16 v2, v2, 2.0, -v6
	v_fma_f16 v13, v13, 2.0, -v10
	v_fma_f16 v21, v23, 2.0, -v18
	v_fma_f16 v23, v11, 2.0, -v20
	v_pk_add_f16 v30, v14, v22 op_sel:[0,1] op_sel_hi:[1,0]
	v_pack_b32_f16 v35, v41, v42
	v_pack_b32_f16 v33, v37, v38
	v_lshlrev_b32_e32 v74, 5, v24
	v_pk_fma_f16 v1, v1, 2.0, v0 op_sel_hi:[1,0,1] neg_lo:[0,0,1] neg_hi:[0,0,1]
	v_pack_b32_f16 v4, v72, v75
	v_pack_b32_f16 v3, v3, v2
	;; [unrolled: 1-line block ×3, first 2 shown]
	v_pk_fma_f16 v8, v8, 2.0, v14 op_sel_hi:[1,0,1] neg_lo:[0,0,1] neg_hi:[0,0,1]
	v_fma_f16 v26, v21, s15, v12
	v_fma_f16 v29, v23, s15, v13
	v_pk_add_f16 v11, v14, v22 op_sel:[0,1] op_sel_hi:[1,0] neg_lo:[0,1] neg_hi:[0,1]
	v_fma_f16 v31, v18, s14, v9
	v_fma_f16 v22, v20, s14, v10
	ds_write_b128 v73, v[32:35] offset:16
	ds_write_b128 v74, v[1:4]
	v_pack_b32_f16 v3, v52, v53
	v_pack_b32_f16 v2, v5, v6
	;; [unrolled: 1-line block ×3, first 2 shown]
	v_lshrrev_b32_e32 v25, 16, v30
	ds_write_b128 v74, v[0:3] offset:16
	s_and_saveexec_b64 s[18:19], s[2:3]
	s_xor_b64 s[2:3], exec, s[18:19]
; %bb.6:
                                        ; implicit-def: $vgpr9
                                        ; implicit-def: $vgpr10
                                        ; implicit-def: $vgpr12
                                        ; implicit-def: $vgpr13
                                        ; implicit-def: $vgpr14
                                        ; implicit-def: $vgpr30
; %bb.7:
	s_or_saveexec_b64 s[2:3], s[2:3]
	s_load_dwordx2 s[4:5], s[4:5], 0x8
	v_pk_add_f16 v0, v8, v19 neg_lo:[0,1] neg_hi:[0,1]
	v_fma_f16 v27, v23, s15, v26
	v_fma_f16 v35, v21, s14, v29
	;; [unrolled: 1-line block ×4, first 2 shown]
	s_xor_b64 exec, exec, s[2:3]
	s_cbranch_execz .LBB0_9
; %bb.8:
	s_mov_b32 s14, 0xffff
	v_bfi_b32 v2, s14, v11, v30
	v_fma_f16 v1, v9, 2.0, -v33
	v_fma_f16 v4, v10, 2.0, -v36
	;; [unrolled: 1-line block ×4, first 2 shown]
	v_lshlrev_b32_e32 v10, 5, v28
	v_pk_fma_f16 v3, v8, 2.0, v0 op_sel_hi:[1,0,1] neg_lo:[0,0,1] neg_hi:[0,0,1]
	v_pk_fma_f16 v5, v14, 2.0, v2 op_sel_hi:[1,0,1] neg_lo:[0,0,1] neg_hi:[0,0,1]
	v_pack_b32_f16 v6, v1, v4
	v_pack_b32_f16 v4, v7, v9
	s_mov_b32 s14, 0x5040100
	ds_write_b128 v10, v[3:6]
	v_perm_b32 v3, v36, v33, s14
	v_perm_b32 v1, v35, v27, s14
	ds_write_b128 v10, v[0:3] offset:16
.LBB0_9:
	s_or_b64 exec, exec, s[2:3]
	v_add_u32_e32 v1, 0x1200, v54
	s_waitcnt lgkmcnt(0)
	s_barrier
	ds_read2_b32 v[5:6], v1 offset0:24 offset1:248
	v_add_u32_e32 v1, 0x2480, v54
	ds_read2_b32 v[9:10], v1 offset0:16 offset1:240
	v_add_u32_e32 v1, 0x3700, v54
	v_add_u32_e32 v12, 0x2b80, v54
	ds_read2_b32 v[20:21], v1 offset0:8 offset1:232
	v_add_u32_e32 v1, 0x700, v54
	;; [unrolled: 3-line block ×3, first 2 shown]
	ds_read2_b32 v[3:4], v54 offset1:224
	ds_read2_b32 v[1:2], v1 offset1:224
	ds_read2_b32 v[7:8], v7 offset0:24 offset1:248
	ds_read2_b32 v[22:23], v12 offset0:8 offset1:232
	ds_read_b32 v26, v54 offset:3584
	ds_read_b32 v38, v54 offset:8288
	;; [unrolled: 1-line block ×4, first 2 shown]
	v_lshlrev_b32_e32 v30, 3, v69
	v_lshlrev_b32_e32 v29, 3, v24
	v_cmp_gt_u16_e64 s[2:3], 56, v69
	s_and_saveexec_b64 s[14:15], s[2:3]
	s_cbranch_execz .LBB0_11
; %bb.10:
	ds_read_b32 v27, v54 offset:9184
	ds_read_b32 v11, v54 offset:13888
	;; [unrolled: 1-line block ×4, first 2 shown]
	s_waitcnt lgkmcnt(3)
	v_lshrrev_b32_e32 v35, 16, v27
	s_waitcnt lgkmcnt(2)
	v_lshrrev_b32_e32 v25, 16, v11
	;; [unrolled: 2-line block ×3, first 2 shown]
.LBB0_11:
	s_or_b64 exec, exec, s[14:15]
	v_and_b32_e32 v72, 7, v69
	v_mad_u64_u32 v[12:13], s[14:15], v72, 12, s[4:5]
	s_waitcnt lgkmcnt(11)
	v_lshrrev_b32_e32 v40, 16, v5
	s_waitcnt lgkmcnt(5)
	v_lshrrev_b32_e32 v48, 16, v7
	global_load_dwordx3 v[12:14], v[12:13], off
	v_lshrrev_b32_e32 v49, 16, v18
	s_waitcnt lgkmcnt(4)
	v_lshrrev_b32_e32 v50, 16, v22
	v_lshrrev_b32_e32 v53, 16, v19
	;; [unrolled: 1-line block ×10, first 2 shown]
	s_waitcnt lgkmcnt(0)
	v_lshrrev_b32_e32 v79, 16, v34
	v_lshrrev_b32_e32 v39, 16, v3
	;; [unrolled: 1-line block ×7, first 2 shown]
	s_movk_i32 s14, 0x2a0
	v_add_co_u32_e32 v31, vcc, s14, v69
	s_movk_i32 s14, 0x460
	s_waitcnt vmcnt(0)
	s_barrier
	s_movk_i32 s15, 0x380
	v_add_co_u32_e32 v32, vcc, s15, v69
	s_movk_i32 s16, 0x4000
	v_mul_f16_sdwa v81, v5, v12 dst_sel:DWORD dst_unused:UNUSED_PAD src0_sel:DWORD src1_sel:WORD_1
	v_mul_f16_sdwa v80, v40, v12 dst_sel:DWORD dst_unused:UNUSED_PAD src0_sel:DWORD src1_sel:WORD_1
	v_fma_f16 v40, v40, v12, v81
	v_mul_f16_sdwa v81, v35, v12 dst_sel:DWORD dst_unused:UNUSED_PAD src0_sel:DWORD src1_sel:WORD_1
	v_mul_f16_sdwa v92, v48, v12 dst_sel:DWORD dst_unused:UNUSED_PAD src0_sel:DWORD src1_sel:WORD_1
	;; [unrolled: 1-line block ×4, first 2 shown]
	v_fma_f16 v81, v27, v12, -v81
	v_mul_f16_sdwa v27, v27, v12 dst_sel:DWORD dst_unused:UNUSED_PAD src0_sel:DWORD src1_sel:WORD_1
	v_mul_f16_sdwa v93, v7, v12 dst_sel:DWORD dst_unused:UNUSED_PAD src0_sel:DWORD src1_sel:WORD_1
	;; [unrolled: 1-line block ×4, first 2 shown]
	v_fma_f16 v7, v7, v12, -v92
	v_fma_f16 v18, v18, v13, -v94
	;; [unrolled: 1-line block ×3, first 2 shown]
	v_fma_f16 v27, v35, v12, v27
	v_mul_f16_sdwa v35, v25, v13 dst_sel:DWORD dst_unused:UNUSED_PAD src0_sel:DWORD src1_sel:WORD_1
	v_fma_f16 v35, v11, v13, -v35
	v_mul_f16_sdwa v11, v11, v13 dst_sel:DWORD dst_unused:UNUSED_PAD src0_sel:DWORD src1_sel:WORD_1
	v_sub_f16_e32 v18, v1, v18
	v_sub_f16_e32 v22, v7, v22
	v_mul_f16_sdwa v83, v9, v13 dst_sel:DWORD dst_unused:UNUSED_PAD src0_sel:DWORD src1_sel:WORD_1
	v_mul_f16_sdwa v85, v20, v14 dst_sel:DWORD dst_unused:UNUSED_PAD src0_sel:DWORD src1_sel:WORD_1
	;; [unrolled: 1-line block ×9, first 2 shown]
	v_fma_f16 v11, v25, v13, v11
	v_mul_f16_sdwa v25, v36, v14 dst_sel:DWORD dst_unused:UNUSED_PAD src0_sel:DWORD src1_sel:WORD_1
	v_fma_f16 v1, v1, 2.0, -v18
	v_fma_f16 v7, v7, 2.0, -v22
	v_mul_f16_sdwa v82, v41, v13 dst_sel:DWORD dst_unused:UNUSED_PAD src0_sel:DWORD src1_sel:WORD_1
	v_mul_f16_sdwa v84, v42, v14 dst_sel:DWORD dst_unused:UNUSED_PAD src0_sel:DWORD src1_sel:WORD_1
	;; [unrolled: 1-line block ×8, first 2 shown]
	v_fma_f16 v41, v41, v13, v83
	v_fma_f16 v42, v42, v14, v85
	;; [unrolled: 1-line block ×9, first 2 shown]
	v_fma_f16 v19, v19, v13, -v100
	v_fma_f16 v53, v53, v13, v101
	v_fma_f16 v75, v75, v14, v103
	v_fma_f16 v25, v33, v14, -v25
	v_mul_f16_sdwa v33, v33, v14 dst_sel:DWORD dst_unused:UNUSED_PAD src0_sel:DWORD src1_sel:WORD_1
	v_sub_f16_e32 v7, v1, v7
	v_mul_f16_sdwa v105, v38, v12 dst_sel:DWORD dst_unused:UNUSED_PAD src0_sel:DWORD src1_sel:WORD_1
	v_mul_f16_sdwa v106, v78, v13 dst_sel:DWORD dst_unused:UNUSED_PAD src0_sel:DWORD src1_sel:WORD_1
	v_fma_f16 v5, v5, v12, -v80
	v_fma_f16 v80, v34, v14, -v108
	v_mul_f16_sdwa v34, v34, v14 dst_sel:DWORD dst_unused:UNUSED_PAD src0_sel:DWORD src1_sel:WORD_1
	v_fma_f16 v33, v36, v14, v33
	v_sub_f16_e32 v36, v39, v41
	v_sub_f16_e32 v41, v40, v42
	;; [unrolled: 1-line block ×6, first 2 shown]
	v_fma_f16 v50, v1, 2.0, -v7
	v_sub_f16_e32 v1, v2, v19
	v_sub_f16_e32 v19, v51, v53
	;; [unrolled: 1-line block ×3, first 2 shown]
	v_mul_f16_sdwa v104, v77, v12 dst_sel:DWORD dst_unused:UNUSED_PAD src0_sel:DWORD src1_sel:WORD_1
	v_mul_f16_sdwa v107, v37, v13 dst_sel:DWORD dst_unused:UNUSED_PAD src0_sel:DWORD src1_sel:WORD_1
	v_fma_f16 v77, v77, v12, v105
	v_fma_f16 v37, v37, v13, -v106
	v_fma_f16 v79, v79, v14, v34
	v_fma_f16 v52, v52, 2.0, -v53
	v_sub_f16_e32 v53, v1, v53
	v_fma_f16 v2, v2, 2.0, -v1
	v_fma_f16 v75, v1, 2.0, -v53
	v_sub_f16_e32 v1, v26, v37
	v_sub_f16_e32 v79, v77, v79
	v_fma_f16 v9, v9, v13, -v82
	v_fma_f16 v20, v20, v14, -v84
	v_fma_f16 v78, v78, v13, v107
	v_sub_f16_e32 v87, v1, v79
	v_sub_f16_e32 v9, v3, v9
	;; [unrolled: 1-line block ×4, first 2 shown]
	v_fma_f16 v26, v26, 2.0, -v1
	v_fma_f16 v92, v1, 2.0, -v87
	v_lshrrev_b32_e32 v1, 16, v0
	v_fma_f16 v3, v3, 2.0, -v9
	v_fma_f16 v39, v39, 2.0, -v36
	;; [unrolled: 1-line block ×6, first 2 shown]
	v_sub_f16_e32 v11, v1, v11
	v_sub_f16_e32 v25, v81, v25
	v_fma_f16 v10, v10, v13, -v88
	v_add_co_u32_e32 v34, vcc, s14, v69
	v_sub_f16_e32 v5, v3, v5
	v_sub_f16_e32 v40, v39, v40
	;; [unrolled: 1-line block ×3, first 2 shown]
	v_add_f16_e32 v20, v36, v20
	v_sub_f16_e32 v82, v76, v77
	v_sub_f16_e32 v35, v0, v35
	v_add_f16_e32 v88, v11, v25
	s_movk_i32 s14, 0x3e0
	v_fma_f16 v6, v6, v12, -v86
	v_fma_f16 v21, v21, v14, -v90
	v_fma_f16 v3, v3, 2.0, -v5
	v_fma_f16 v39, v39, 2.0, -v40
	;; [unrolled: 1-line block ×9, first 2 shown]
	v_and_or_b32 v11, v54, s14, v72
	v_sub_f16_e32 v10, v4, v10
	v_sub_f16_e32 v21, v6, v21
	;; [unrolled: 1-line block ×3, first 2 shown]
	v_lshlrev_b32_e32 v76, 2, v11
	v_pack_b32_f16 v3, v3, v39
	v_pack_b32_f16 v9, v9, v36
	v_fma_f16 v4, v4, 2.0, -v10
	v_fma_f16 v43, v43, 2.0, -v42
	;; [unrolled: 1-line block ×4, first 2 shown]
	ds_write2_b32 v76, v3, v9 offset1:8
	v_pack_b32_f16 v3, v5, v40
	v_pack_b32_f16 v5, v41, v20
	v_sub_f16_e32 v6, v4, v6
	v_sub_f16_e32 v44, v43, v44
	;; [unrolled: 1-line block ×3, first 2 shown]
	v_add_f16_e32 v21, v42, v21
	ds_write2_b32 v76, v3, v5 offset0:16 offset1:24
	v_lshlrev_b32_e32 v3, 2, v24
	s_movk_i32 s14, 0x7e0
	v_fma_f16 v4, v4, 2.0, -v6
	v_fma_f16 v43, v43, 2.0, -v44
	v_fma_f16 v10, v10, 2.0, -v45
	v_fma_f16 v42, v42, 2.0, -v21
	v_and_or_b32 v3, v3, s14, v72
	v_lshlrev_b32_e32 v77, 2, v3
	v_pack_b32_f16 v3, v4, v43
	v_pack_b32_f16 v4, v10, v42
	v_fma_f16 v47, v47, 2.0, -v46
	v_fma_f16 v48, v48, 2.0, -v49
	ds_write2_b32 v77, v3, v4 offset1:8
	v_pack_b32_f16 v3, v6, v44
	v_pack_b32_f16 v4, v45, v21
	v_fma_f16 v38, v38, v12, -v104
	v_sub_f16_e32 v48, v47, v48
	v_sub_f16_e32 v49, v18, v49
	v_add_f16_e32 v22, v46, v22
	ds_write2_b32 v77, v3, v4 offset0:16 offset1:24
	v_lshlrev_b32_e32 v3, 2, v28
	s_movk_i32 s14, 0xfe0
	v_fma_f16 v8, v8, v12, -v98
	v_fma_f16 v23, v23, v14, -v102
	v_fma_f16 v47, v47, 2.0, -v48
	v_fma_f16 v18, v18, 2.0, -v49
	;; [unrolled: 1-line block ×3, first 2 shown]
	v_sub_f16_e32 v78, v38, v80
	v_and_or_b32 v3, v3, s14, v72
	v_sub_f16_e32 v23, v8, v23
	v_fma_f16 v38, v38, 2.0, -v78
	v_add_f16_e32 v91, v37, v78
	v_lshlrev_b32_e32 v78, 2, v3
	v_pack_b32_f16 v3, v50, v47
	v_pack_b32_f16 v4, v18, v46
	v_fma_f16 v51, v51, 2.0, -v19
	v_fma_f16 v8, v8, 2.0, -v23
	ds_write2_b32 v78, v3, v4 offset1:8
	v_pack_b32_f16 v3, v7, v48
	v_pack_b32_f16 v4, v49, v22
	v_sub_f16_e32 v8, v2, v8
	v_sub_f16_e32 v52, v51, v52
	v_add_f16_e32 v23, v19, v23
	ds_write2_b32 v78, v3, v4 offset0:16 offset1:24
	v_lshlrev_b32_e32 v3, 2, v31
	v_fma_f16 v2, v2, 2.0, -v8
	v_fma_f16 v51, v51, 2.0, -v52
	;; [unrolled: 1-line block ×3, first 2 shown]
	v_and_or_b32 v3, v3, s14, v72
	v_lshlrev_b32_e32 v79, 2, v3
	v_pack_b32_f16 v2, v2, v51
	v_pack_b32_f16 v3, v75, v19
	ds_write2_b32 v79, v2, v3 offset1:8
	v_pack_b32_f16 v2, v8, v52
	v_pack_b32_f16 v3, v53, v23
	v_sub_f16_e32 v38, v26, v38
	ds_write2_b32 v79, v2, v3 offset0:16 offset1:24
	v_lshlrev_b32_e32 v2, 2, v32
	s_movk_i32 s14, 0x1fe0
	v_fma_f16 v26, v26, 2.0, -v38
	v_fma_f16 v37, v37, 2.0, -v91
	v_sub_f16_e32 v33, v27, v33
	v_and_or_b32 v2, v2, s14, v72
	v_fma_f16 v27, v27, 2.0, -v33
	v_sub_f16_e32 v85, v35, v33
	v_lshlrev_b32_e32 v80, 2, v2
	v_pack_b32_f16 v2, v26, v83
	v_pack_b32_f16 v3, v92, v37
	v_sub_f16_e32 v90, v1, v27
	v_fma_f16 v84, v35, 2.0, -v85
	ds_write2_b32 v80, v2, v3 offset1:8
	v_pack_b32_f16 v2, v38, v82
	v_pack_b32_f16 v3, v87, v91
	v_lshlrev_b32_e32 v75, 2, v34
	ds_write2_b32 v80, v2, v3 offset0:16 offset1:24
	s_and_saveexec_b64 s[14:15], s[2:3]
	s_cbranch_execz .LBB0_13
; %bb.12:
	s_movk_i32 s18, 0x13e0
	v_fma_f16 v0, v0, 2.0, -v86
	v_fma_f16 v1, v1, 2.0, -v90
	v_and_or_b32 v2, v75, s18, v72
	s_mov_b32 s18, 0x5040100
	v_lshlrev_b32_e32 v2, 2, v2
	v_pack_b32_f16 v0, v0, v1
	v_perm_b32 v1, v89, v84, s18
	ds_write2_b32 v2, v0, v1 offset1:8
	v_perm_b32 v0, v90, v86, s18
	v_perm_b32 v1, v88, v85, s18
	ds_write2_b32 v2, v0, v1 offset0:16 offset1:24
.LBB0_13:
	s_or_b64 exec, exec, s[14:15]
	v_and_b32_e32 v27, 31, v69
	v_mad_u64_u32 v[4:5], s[14:15], v27, 24, s[4:5]
	s_waitcnt lgkmcnt(0)
	s_barrier
	global_load_dwordx4 v[0:3], v[4:5], off offset:96
	global_load_dwordx2 v[18:19], v[4:5], off offset:112
	ds_read2_b32 v[4:5], v54 offset1:224
	v_add_u32_e32 v41, 0x700, v54
	v_add_u32_e32 v45, 0x1500, v54
	;; [unrolled: 1-line block ×9, first 2 shown]
	ds_read_b32 v33, v54 offset:17920
	ds_read2_b32 v[6:7], v41 offset1:224
	ds_read2_b32 v[8:9], v45 offset1:224
	;; [unrolled: 1-line block ×9, first 2 shown]
	s_waitcnt lgkmcnt(8)
	v_lshrrev_b32_e32 v51, 16, v7
	s_waitcnt lgkmcnt(3)
	v_lshrrev_b32_e32 v95, 16, v26
	s_waitcnt lgkmcnt(2)
	v_lshrrev_b32_e32 v96, 16, v36
	v_lshrrev_b32_e32 v97, 16, v10
	s_waitcnt lgkmcnt(0)
	v_lshrrev_b32_e32 v94, 16, v49
	v_lshrrev_b32_e32 v98, 16, v48
	;; [unrolled: 1-line block ×12, first 2 shown]
	s_movk_i32 s18, 0x2b26
	s_movk_i32 s15, 0x3b00
	s_mov_b32 s14, 0xbcab
	s_movk_i32 s21, 0x39e0
	s_mov_b32 s23, 0xb9e0
	;; [unrolled: 2-line block ×3, first 2 shown]
	v_lshrrev_b32_e32 v92, 16, v47
	v_lshrrev_b32_e32 v93, 16, v21
	s_movk_i32 s19, 0x370e
	s_waitcnt vmcnt(0)
	s_barrier
	v_lshlrev_b32_e32 v32, 3, v32
	v_lshlrev_b32_e32 v34, 3, v34
	v_mul_f16_sdwa v101, v51, v0 dst_sel:DWORD dst_unused:UNUSED_PAD src0_sel:DWORD src1_sel:WORD_1
	v_mul_f16_sdwa v121, v94, v18 dst_sel:DWORD dst_unused:UNUSED_PAD src0_sel:DWORD src1_sel:WORD_1
	;; [unrolled: 1-line block ×3, first 2 shown]
	v_fma_f16 v7, v7, v0, -v101
	v_fma_f16 v101, v49, v18, -v121
	v_mul_f16_sdwa v49, v49, v18 dst_sel:DWORD dst_unused:UNUSED_PAD src0_sel:DWORD src1_sel:WORD_1
	v_fma_f16 v49, v94, v18, v49
	v_mul_f16_sdwa v94, v95, v19 dst_sel:DWORD dst_unused:UNUSED_PAD src0_sel:DWORD src1_sel:WORD_1
	v_fma_f16 v94, v26, v19, -v94
	v_mul_f16_sdwa v26, v26, v19 dst_sel:DWORD dst_unused:UNUSED_PAD src0_sel:DWORD src1_sel:WORD_1
	v_fma_f16 v26, v95, v19, v26
	v_mul_f16_sdwa v95, v96, v0 dst_sel:DWORD dst_unused:UNUSED_PAD src0_sel:DWORD src1_sel:WORD_1
	;; [unrolled: 4-line block ×6, first 2 shown]
	v_fma_f16 v99, v50, v18, -v99
	v_mul_f16_sdwa v50, v50, v18 dst_sel:DWORD dst_unused:UNUSED_PAD src0_sel:DWORD src1_sel:WORD_1
	v_mul_f16_sdwa v103, v52, v1 dst_sel:DWORD dst_unused:UNUSED_PAD src0_sel:DWORD src1_sel:WORD_1
	;; [unrolled: 1-line block ×7, first 2 shown]
	v_fma_f16 v50, v100, v18, v50
	v_mul_f16_sdwa v100, v37, v19 dst_sel:DWORD dst_unused:UNUSED_PAD src0_sel:DWORD src1_sel:WORD_1
	v_mul_f16_sdwa v105, v53, v2 dst_sel:DWORD dst_unused:UNUSED_PAD src0_sel:DWORD src1_sel:WORD_1
	;; [unrolled: 1-line block ×5, first 2 shown]
	v_fma_f16 v51, v51, v0, v102
	v_fma_f16 v52, v52, v1, v104
	;; [unrolled: 1-line block ×4, first 2 shown]
	v_fma_f16 v8, v8, v1, -v103
	v_fma_f16 v23, v23, v18, -v109
	;; [unrolled: 1-line block ×4, first 2 shown]
	v_mul_f16_sdwa v33, v33, v19 dst_sel:DWORD dst_unused:UNUSED_PAD src0_sel:DWORD src1_sel:WORD_1
	v_fma_f16 v53, v53, v2, v106
	v_fma_f16 v81, v81, v3, v108
	v_fma_f16 v11, v11, v2, -v105
	v_fma_f16 v20, v20, v3, -v107
	v_fma_f16 v33, v37, v19, v33
	v_add_f16_e32 v37, v7, v25
	v_add_f16_e32 v102, v51, v83
	v_sub_f16_e32 v7, v7, v25
	v_sub_f16_e32 v25, v51, v83
	v_add_f16_e32 v51, v8, v23
	v_add_f16_e32 v83, v52, v82
	v_sub_f16_e32 v8, v8, v23
	v_sub_f16_e32 v23, v52, v82
	;; [unrolled: 4-line block ×4, first 2 shown]
	v_sub_f16_e32 v37, v37, v52
	v_sub_f16_e32 v102, v102, v82
	;; [unrolled: 1-line block ×4, first 2 shown]
	v_add_f16_e32 v105, v11, v8
	v_add_f16_e32 v106, v20, v23
	v_sub_f16_e32 v107, v11, v8
	v_sub_f16_e32 v108, v20, v23
	;; [unrolled: 1-line block ×4, first 2 shown]
	v_add_f16_e32 v52, v52, v53
	v_add_f16_e32 v53, v82, v81
	v_sub_f16_e32 v11, v7, v11
	v_sub_f16_e32 v20, v25, v20
	v_add_f16_e32 v7, v105, v7
	v_add_f16_e32 v25, v106, v25
	;; [unrolled: 1-line block ×3, first 2 shown]
	v_add_f16_sdwa v4, v4, v53 dst_sel:DWORD dst_unused:UNUSED_PAD src0_sel:WORD_1 src1_sel:DWORD
	v_mul_f16_e32 v37, 0x3a52, v37
	v_mul_f16_e32 v81, 0x3a52, v102
	;; [unrolled: 1-line block ×8, first 2 shown]
	v_mul_f16_sdwa v113, v87, v0 dst_sel:DWORD dst_unused:UNUSED_PAD src0_sel:DWORD src1_sel:WORD_1
	v_mul_f16_sdwa v114, v35, v0 dst_sel:DWORD dst_unused:UNUSED_PAD src0_sel:DWORD src1_sel:WORD_1
	;; [unrolled: 1-line block ×4, first 2 shown]
	v_fma_f16 v52, v52, s14, v82
	v_fma_f16 v53, v53, s14, v4
	;; [unrolled: 1-line block ×4, first 2 shown]
	v_fma_f16 v102, v103, s21, -v102
	v_fma_f16 v105, v104, s21, -v105
	;; [unrolled: 1-line block ×4, first 2 shown]
	v_fma_f16 v103, v11, s20, v106
	v_fma_f16 v104, v20, s20, v107
	v_fma_f16 v8, v8, s15, -v106
	v_fma_f16 v11, v11, s22, -v108
	;; [unrolled: 1-line block ×3, first 2 shown]
	v_mul_f16_sdwa v117, v92, v2 dst_sel:DWORD dst_unused:UNUSED_PAD src0_sel:DWORD src1_sel:WORD_1
	v_mul_f16_sdwa v118, v47, v2 dst_sel:DWORD dst_unused:UNUSED_PAD src0_sel:DWORD src1_sel:WORD_1
	;; [unrolled: 1-line block ×4, first 2 shown]
	v_fma_f16 v87, v87, v0, v114
	v_fma_f16 v35, v35, v0, -v113
	v_fma_f16 v9, v9, v1, -v115
	v_fma_f16 v91, v91, v1, v116
	v_fma_f16 v23, v23, s15, -v107
	v_add_f16_e32 v51, v51, v52
	v_add_f16_e32 v83, v83, v53
	;; [unrolled: 1-line block ×6, first 2 shown]
	v_fma_f16 v53, v7, s19, v103
	v_fma_f16 v81, v25, s19, v104
	v_fma_f16 v8, v7, s19, v8
	v_fma_f16 v7, v7, s19, v11
	v_fma_f16 v11, v25, s19, v20
	v_fma_f16 v47, v47, v2, -v117
	v_fma_f16 v92, v92, v2, v118
	v_fma_f16 v21, v21, v3, -v119
	v_fma_f16 v93, v93, v3, v120
	v_fma_f16 v23, v25, s19, v23
	v_add_f16_e32 v20, v81, v51
	v_sub_f16_e32 v25, v83, v53
	v_add_f16_e32 v103, v11, v37
	v_sub_f16_e32 v104, v52, v7
	v_sub_f16_e32 v11, v37, v11
	v_add_f16_e32 v7, v7, v52
	v_sub_f16_e32 v37, v51, v81
	v_add_f16_e32 v51, v53, v83
	v_add_f16_e32 v52, v35, v94
	;; [unrolled: 1-line block ×5, first 2 shown]
	v_sub_f16_e32 v35, v35, v94
	v_sub_f16_e32 v26, v87, v26
	;; [unrolled: 1-line block ×4, first 2 shown]
	v_add_f16_e32 v87, v47, v21
	v_add_f16_e32 v91, v92, v93
	v_sub_f16_e32 v21, v21, v47
	v_sub_f16_e32 v47, v93, v92
	v_add_f16_e32 v92, v81, v52
	v_add_f16_e32 v93, v83, v53
	v_sub_f16_e32 v106, v102, v23
	v_add_f16_e32 v107, v8, v105
	v_add_f16_e32 v23, v23, v102
	v_sub_f16_e32 v8, v105, v8
	v_sub_f16_e32 v94, v81, v52
	;; [unrolled: 1-line block ×7, first 2 shown]
	v_add_f16_e32 v102, v21, v9
	v_add_f16_e32 v105, v47, v49
	v_sub_f16_e32 v108, v21, v9
	v_sub_f16_e32 v109, v47, v49
	;; [unrolled: 1-line block ×4, first 2 shown]
	v_add_f16_e32 v87, v87, v92
	v_add_f16_e32 v91, v91, v93
	v_sub_f16_e32 v21, v35, v21
	v_sub_f16_e32 v47, v26, v47
	v_add_f16_e32 v35, v102, v35
	v_add_f16_e32 v26, v105, v26
	;; [unrolled: 1-line block ×3, first 2 shown]
	v_add_f16_sdwa v5, v5, v91 dst_sel:DWORD dst_unused:UNUSED_PAD src0_sel:WORD_1 src1_sel:DWORD
	v_mul_f16_e32 v52, 0x3a52, v52
	v_mul_f16_e32 v53, 0x3a52, v53
	;; [unrolled: 1-line block ×8, first 2 shown]
	v_fma_f16 v87, v87, s14, v92
	v_fma_f16 v91, v91, s14, v5
	;; [unrolled: 1-line block ×4, first 2 shown]
	v_fma_f16 v93, v94, s21, -v93
	v_fma_f16 v102, v101, s21, -v102
	;; [unrolled: 1-line block ×4, first 2 shown]
	v_fma_f16 v94, v21, s20, v105
	v_fma_f16 v101, v47, s20, v108
	v_fma_f16 v49, v49, s15, -v108
	v_fma_f16 v21, v21, s22, -v109
	;; [unrolled: 1-line block ×4, first 2 shown]
	v_add_f16_e32 v81, v81, v87
	v_add_f16_e32 v83, v83, v91
	v_add_f16_e32 v93, v93, v87
	v_add_f16_e32 v102, v102, v91
	v_add_f16_e32 v52, v52, v87
	v_add_f16_e32 v53, v53, v91
	v_fma_f16 v87, v35, s19, v94
	v_fma_f16 v91, v26, s19, v101
	;; [unrolled: 1-line block ×6, first 2 shown]
	v_add_f16_e32 v35, v91, v81
	v_sub_f16_e32 v47, v83, v87
	v_add_f16_e32 v94, v26, v52
	v_sub_f16_e32 v101, v53, v21
	v_sub_f16_e32 v26, v52, v26
	v_add_f16_e32 v21, v21, v53
	v_sub_f16_e32 v52, v81, v91
	v_add_f16_e32 v53, v87, v83
	v_add_f16_e32 v81, v95, v100
	;; [unrolled: 1-line block ×3, first 2 shown]
	v_sub_f16_e32 v33, v36, v33
	v_add_f16_e32 v36, v96, v99
	v_add_f16_e32 v91, v10, v50
	v_sub_f16_e32 v105, v93, v49
	v_add_f16_e32 v49, v49, v93
	v_sub_f16_e32 v87, v95, v100
	v_sub_f16_e32 v93, v96, v99
	;; [unrolled: 1-line block ×3, first 2 shown]
	v_add_f16_e32 v50, v97, v98
	v_add_f16_e32 v95, v48, v22
	v_sub_f16_e32 v96, v98, v97
	v_sub_f16_e32 v22, v22, v48
	v_add_f16_e32 v48, v36, v81
	v_add_f16_e32 v97, v91, v83
	;; [unrolled: 1-line block ×3, first 2 shown]
	v_sub_f16_e32 v9, v102, v9
	v_sub_f16_e32 v98, v36, v81
	;; [unrolled: 1-line block ×7, first 2 shown]
	v_add_f16_e32 v100, v96, v93
	v_add_f16_e32 v102, v22, v10
	v_sub_f16_e32 v109, v96, v93
	v_sub_f16_e32 v110, v22, v10
	;; [unrolled: 1-line block ×4, first 2 shown]
	v_add_f16_e32 v48, v50, v48
	v_add_f16_e32 v50, v95, v97
	v_sub_f16_e32 v96, v87, v96
	v_sub_f16_e32 v22, v33, v22
	v_add_f16_e32 v87, v100, v87
	v_add_f16_e32 v33, v102, v33
	;; [unrolled: 1-line block ×3, first 2 shown]
	v_add_f16_sdwa v6, v6, v50 dst_sel:DWORD dst_unused:UNUSED_PAD src0_sel:WORD_1 src1_sel:DWORD
	v_mul_f16_e32 v81, 0x3a52, v81
	v_mul_f16_e32 v83, 0x3a52, v83
	;; [unrolled: 1-line block ×8, first 2 shown]
	v_fma_f16 v48, v48, s14, v95
	v_fma_f16 v50, v50, s14, v6
	;; [unrolled: 1-line block ×4, first 2 shown]
	v_fma_f16 v97, v98, s21, -v97
	v_fma_f16 v100, v99, s21, -v100
	;; [unrolled: 1-line block ×4, first 2 shown]
	v_fma_f16 v98, v96, s20, v102
	v_fma_f16 v99, v22, s20, v109
	v_fma_f16 v93, v93, s15, -v102
	v_fma_f16 v96, v96, s22, -v110
	;; [unrolled: 1-line block ×3, first 2 shown]
	v_add_f16_e32 v36, v36, v48
	v_add_f16_e32 v91, v91, v50
	;; [unrolled: 1-line block ×6, first 2 shown]
	v_fma_f16 v81, v87, s19, v98
	v_fma_f16 v93, v87, s19, v93
	;; [unrolled: 1-line block ×5, first 2 shown]
	v_sub_f16_e32 v96, v91, v81
	v_add_f16_e32 v98, v22, v48
	v_sub_f16_e32 v99, v50, v87
	v_sub_f16_e32 v22, v48, v22
	v_add_f16_e32 v48, v87, v50
	v_add_f16_e32 v50, v81, v91
	v_lshrrev_b32_e32 v81, 5, v69
	v_mul_u32_u24_e32 v81, 0xe0, v81
	v_or_b32_e32 v81, v81, v27
	v_lshlrev_b32_e32 v81, 2, v81
	v_pack_b32_f16 v4, v82, v4
	v_pack_b32_f16 v20, v20, v25
	ds_write2_b32 v81, v4, v20 offset1:32
	v_pack_b32_f16 v4, v103, v104
	v_pack_b32_f16 v20, v106, v107
	ds_write2_b32 v81, v4, v20 offset0:64 offset1:96
	v_pack_b32_f16 v4, v23, v8
	v_pack_b32_f16 v7, v11, v7
	ds_write2_b32 v81, v4, v7 offset0:128 offset1:160
	v_pack_b32_f16 v4, v37, v51
	ds_write_b32 v81, v4 offset:768
	v_lshrrev_b32_e32 v4, 5, v24
	v_mul_u32_u24_e32 v4, 0xe0, v4
	v_or_b32_e32 v4, v4, v27
	v_lshlrev_b32_e32 v82, 2, v4
	v_pack_b32_f16 v4, v92, v5
	v_pack_b32_f16 v5, v35, v47
	ds_write2_b32 v82, v4, v5 offset1:32
	v_pack_b32_f16 v4, v94, v101
	v_pack_b32_f16 v5, v105, v108
	ds_write2_b32 v82, v4, v5 offset0:64 offset1:96
	v_pack_b32_f16 v4, v49, v9
	v_pack_b32_f16 v5, v26, v21
	ds_write2_b32 v82, v4, v5 offset0:128 offset1:160
	v_pack_b32_f16 v4, v52, v53
	ds_write_b32 v82, v4 offset:768
	v_lshrrev_b32_e32 v4, 5, v28
	v_fma_f16 v10, v10, s15, -v109
	v_mul_u32_u24_e32 v4, 0xe0, v4
	v_fma_f16 v10, v33, s19, v10
	v_add_f16_e32 v33, v83, v36
	v_or_b32_e32 v4, v4, v27
	v_sub_f16_e32 v102, v97, v10
	v_add_f16_e32 v109, v93, v100
	v_sub_f16_e32 v36, v36, v83
	v_lshlrev_b32_e32 v83, 2, v4
	v_pack_b32_f16 v4, v95, v6
	v_pack_b32_f16 v5, v33, v96
	v_mad_u64_u32 v[8:9], s[24:25], v69, 24, s[4:5]
	v_add_f16_e32 v10, v10, v97
	v_sub_f16_e32 v93, v100, v93
	ds_write2_b32 v83, v4, v5 offset1:32
	v_pack_b32_f16 v4, v98, v99
	v_pack_b32_f16 v5, v102, v109
	ds_write2_b32 v83, v4, v5 offset0:64 offset1:96
	v_pack_b32_f16 v4, v10, v93
	v_pack_b32_f16 v5, v22, v48
	ds_write2_b32 v83, v4, v5 offset0:128 offset1:160
	v_pack_b32_f16 v4, v36, v50
	ds_write_b32 v83, v4 offset:768
	s_waitcnt lgkmcnt(0)
	s_barrier
	global_load_dwordx4 v[4:7], v[8:9], off offset:864
	global_load_dwordx2 v[20:21], v[8:9], off offset:880
	ds_read2_b32 v[24:25], v41 offset1:224
	ds_read2_b32 v[26:27], v54 offset1:224
	ds_read2_b32 v[36:37], v45 offset1:224
	ds_read2_b32 v[47:48], v43 offset1:224
	ds_read2_b32 v[49:50], v38 offset1:224
	ds_read2_b32 v[51:52], v46 offset1:224
	ds_read2_b32 v[91:92], v39 offset1:224
	s_waitcnt lgkmcnt(4)
	v_lshrrev_b32_e32 v9, 16, v36
	s_waitcnt lgkmcnt(3)
	v_lshrrev_b32_e32 v10, 16, v48
	v_lshrrev_b32_e32 v8, 16, v25
	s_waitcnt lgkmcnt(2)
	v_lshrrev_b32_e32 v11, 16, v49
	s_waitcnt lgkmcnt(1)
	;; [unrolled: 2-line block ×3, first 2 shown]
	v_lshrrev_b32_e32 v33, 16, v91
	s_movk_i32 s24, 0xe0
	ds_read_b32 v35, v54 offset:17920
	s_waitcnt vmcnt(1)
	v_mul_f16_sdwa v23, v8, v4 dst_sel:DWORD dst_unused:UNUSED_PAD src0_sel:DWORD src1_sel:WORD_1
	v_fma_f16 v53, v25, v4, -v23
	v_mul_f16_sdwa v23, v25, v4 dst_sel:DWORD dst_unused:UNUSED_PAD src0_sel:DWORD src1_sel:WORD_1
	v_fma_f16 v87, v8, v4, v23
	v_mul_f16_sdwa v8, v9, v5 dst_sel:DWORD dst_unused:UNUSED_PAD src0_sel:DWORD src1_sel:WORD_1
	v_fma_f16 v93, v36, v5, -v8
	v_mul_f16_sdwa v8, v36, v5 dst_sel:DWORD dst_unused:UNUSED_PAD src0_sel:DWORD src1_sel:WORD_1
	v_fma_f16 v94, v9, v5, v8
	;; [unrolled: 4-line block ×4, first 2 shown]
	s_waitcnt vmcnt(0)
	v_mul_f16_sdwa v8, v22, v20 dst_sel:DWORD dst_unused:UNUSED_PAD src0_sel:DWORD src1_sel:WORD_1
	v_fma_f16 v97, v52, v20, -v8
	v_mul_f16_sdwa v8, v52, v20 dst_sel:DWORD dst_unused:UNUSED_PAD src0_sel:DWORD src1_sel:WORD_1
	v_fma_f16 v52, v22, v20, v8
	v_mul_f16_sdwa v8, v33, v21 dst_sel:DWORD dst_unused:UNUSED_PAD src0_sel:DWORD src1_sel:WORD_1
	v_fma_f16 v98, v91, v21, -v8
	v_lshrrev_b16_e32 v8, 5, v28
	v_mul_u32_u24_e32 v8, 0x2493, v8
	v_mul_lo_u16_sdwa v8, v8, s24 dst_sel:DWORD dst_unused:UNUSED_PAD src0_sel:WORD_1 src1_sel:DWORD
	v_sub_u16_e32 v25, v28, v8
	v_mul_lo_u16_e32 v8, 24, v25
	v_mov_b32_e32 v36, s5
	v_add_co_u32_e32 v22, vcc, s4, v8
	v_addc_co_u32_e32 v23, vcc, 0, v36, vcc
	global_load_dwordx4 v[8:11], v[22:23], off offset:864
	v_mul_f16_sdwa v91, v91, v21 dst_sel:DWORD dst_unused:UNUSED_PAD src0_sel:DWORD src1_sel:WORD_1
	global_load_dwordx2 v[22:23], v[22:23], off offset:880
	v_fma_f16 v33, v33, v21, v91
	v_add_f16_e32 v91, v53, v98
	v_add_f16_e32 v99, v87, v33
	v_sub_f16_e32 v33, v87, v33
	v_add_f16_e32 v87, v93, v97
	v_add_f16_e32 v100, v94, v52
	v_sub_f16_e32 v98, v53, v98
	v_sub_f16_e32 v97, v93, v97
	;; [unrolled: 1-line block ×3, first 2 shown]
	v_add_f16_e32 v52, v95, v96
	v_add_f16_e32 v53, v48, v49
	v_sub_f16_e32 v93, v96, v95
	v_sub_f16_e32 v48, v49, v48
	v_add_f16_e32 v49, v87, v91
	v_add_f16_e32 v94, v100, v99
	v_sub_f16_e32 v95, v91, v52
	v_sub_f16_e32 v96, v99, v53
	v_add_f16_e32 v105, v48, v101
	v_sub_f16_e32 v106, v93, v97
	v_sub_f16_e32 v107, v48, v101
	;; [unrolled: 1-line block ×3, first 2 shown]
	v_add_f16_e32 v48, v52, v49
	v_add_f16_e32 v49, v53, v94
	v_sub_f16_e32 v102, v52, v87
	v_sub_f16_e32 v103, v53, v100
	v_add_f16_e32 v104, v93, v97
	v_sub_f16_e32 v108, v98, v93
	v_add_f16_e32 v52, v26, v48
	v_add_f16_sdwa v26, v26, v49 dst_sel:DWORD dst_unused:UNUSED_PAD src0_sel:WORD_1 src1_sel:DWORD
	v_mul_f16_e32 v95, 0x3a52, v95
	v_mul_f16_e32 v96, 0x3a52, v96
	v_mul_f16_e32 v106, 0xb846, v106
	v_mul_f16_e32 v107, 0xb846, v107
	v_add_f16_e32 v104, v104, v98
	v_add_f16_e32 v105, v105, v33
	v_fma_f16 v110, v48, s14, v52
	v_fma_f16 v111, v49, s14, v26
	;; [unrolled: 1-line block ×6, first 2 shown]
	v_add_f16_e32 v112, v48, v110
	v_add_f16_e32 v113, v49, v111
	v_fma_f16 v114, v104, s19, v53
	v_fma_f16 v115, v105, s19, v93
	v_add_f16_e32 v48, v115, v112
	v_sub_f16_e32 v49, v113, v114
	v_pack_b32_f16 v26, v52, v26
	v_pack_b32_f16 v116, v48, v49
	ds_read2_b32 v[48:49], v40 offset1:224
	ds_read2_b32 v[52:53], v42 offset1:224
	;; [unrolled: 1-line block ×3, first 2 shown]
	s_waitcnt vmcnt(0) lgkmcnt(0)
	s_barrier
	ds_write2_b32 v54, v26, v116 offset1:224
	v_lshrrev_b32_e32 v26, 16, v37
	v_mul_f16_sdwa v116, v26, v5 dst_sel:DWORD dst_unused:UNUSED_PAD src0_sel:DWORD src1_sel:WORD_1
	v_fma_f16 v116, v37, v5, -v116
	v_mul_f16_sdwa v37, v37, v5 dst_sel:DWORD dst_unused:UNUSED_PAD src0_sel:DWORD src1_sel:WORD_1
	v_fma_f16 v26, v26, v5, v37
	v_lshrrev_b32_e32 v37, 16, v50
	v_mul_f16_sdwa v117, v37, v7 dst_sel:DWORD dst_unused:UNUSED_PAD src0_sel:DWORD src1_sel:WORD_1
	v_fma_f16 v117, v50, v7, -v117
	v_mul_f16_sdwa v50, v50, v7 dst_sel:DWORD dst_unused:UNUSED_PAD src0_sel:DWORD src1_sel:WORD_1
	v_fma_f16 v37, v37, v7, v50
	;; [unrolled: 5-line block ×3, first 2 shown]
	v_lshrrev_b32_e32 v92, 16, v48
	v_mul_f16_sdwa v119, v48, v4 dst_sel:DWORD dst_unused:UNUSED_PAD src0_sel:DWORD src1_sel:WORD_1
	v_fma_f16 v119, v92, v4, v119
	v_mul_f16_sdwa v92, v92, v4 dst_sel:DWORD dst_unused:UNUSED_PAD src0_sel:DWORD src1_sel:WORD_1
	v_fma_f16 v48, v48, v4, -v92
	v_lshrrev_b32_e32 v92, 16, v49
	v_mul_f16_sdwa v122, v52, v6 dst_sel:DWORD dst_unused:UNUSED_PAD src0_sel:DWORD src1_sel:WORD_1
	v_mul_f16_sdwa v125, v93, v20 dst_sel:DWORD dst_unused:UNUSED_PAD src0_sel:DWORD src1_sel:WORD_1
	;; [unrolled: 1-line block ×3, first 2 shown]
	v_fma_f16 v120, v49, v8, -v120
	v_mul_f16_sdwa v49, v49, v8 dst_sel:DWORD dst_unused:UNUSED_PAD src0_sel:DWORD src1_sel:WORD_1
	v_fma_f16 v49, v92, v8, v49
	v_lshrrev_b32_e32 v92, 16, v47
	v_mul_f16_sdwa v121, v92, v9 dst_sel:DWORD dst_unused:UNUSED_PAD src0_sel:DWORD src1_sel:WORD_1
	v_fma_f16 v121, v47, v9, -v121
	v_mul_f16_sdwa v47, v47, v9 dst_sel:DWORD dst_unused:UNUSED_PAD src0_sel:DWORD src1_sel:WORD_1
	v_fma_f16 v47, v92, v9, v47
	v_lshrrev_b32_e32 v92, 16, v52
	v_fma_f16 v122, v92, v6, v122
	v_mul_f16_sdwa v92, v92, v6 dst_sel:DWORD dst_unused:UNUSED_PAD src0_sel:DWORD src1_sel:WORD_1
	v_fma_f16 v52, v52, v6, -v92
	v_lshrrev_b32_e32 v92, 16, v53
	v_mul_f16_sdwa v123, v92, v10 dst_sel:DWORD dst_unused:UNUSED_PAD src0_sel:DWORD src1_sel:WORD_1
	v_fma_f16 v123, v53, v10, -v123
	v_mul_f16_sdwa v53, v53, v10 dst_sel:DWORD dst_unused:UNUSED_PAD src0_sel:DWORD src1_sel:WORD_1
	v_fma_f16 v53, v92, v10, v53
	v_lshrrev_b32_e32 v92, 16, v51
	v_mul_f16_sdwa v124, v92, v11 dst_sel:DWORD dst_unused:UNUSED_PAD src0_sel:DWORD src1_sel:WORD_1
	v_fma_f16 v124, v51, v11, -v124
	v_mul_f16_sdwa v51, v51, v11 dst_sel:DWORD dst_unused:UNUSED_PAD src0_sel:DWORD src1_sel:WORD_1
	v_fma_f16 v51, v92, v11, v51
	v_lshrrev_b32_e32 v92, 16, v93
	v_fma_f16 v125, v92, v20, v125
	v_mul_f16_sdwa v92, v92, v20 dst_sel:DWORD dst_unused:UNUSED_PAD src0_sel:DWORD src1_sel:WORD_1
	v_fma_f16 v92, v93, v20, -v92
	v_lshrrev_b32_e32 v93, 16, v94
	v_mul_f16_sdwa v126, v93, v22 dst_sel:DWORD dst_unused:UNUSED_PAD src0_sel:DWORD src1_sel:WORD_1
	v_fma_f16 v126, v94, v22, -v126
	v_mul_f16_sdwa v94, v94, v22 dst_sel:DWORD dst_unused:UNUSED_PAD src0_sel:DWORD src1_sel:WORD_1
	v_fma_f16 v93, v93, v22, v94
	v_lshrrev_b32_e32 v94, 16, v35
	v_mul_f16_sdwa v127, v94, v23 dst_sel:DWORD dst_unused:UNUSED_PAD src0_sel:DWORD src1_sel:WORD_1
	v_fma_f16 v127, v35, v23, -v127
	v_mul_f16_sdwa v35, v35, v23 dst_sel:DWORD dst_unused:UNUSED_PAD src0_sel:DWORD src1_sel:WORD_1
	v_fma_f16 v35, v94, v23, v35
	v_sub_f16_e32 v87, v87, v91
	v_sub_f16_e32 v94, v97, v98
	v_mul_f16_e32 v97, 0x2b26, v102
	v_sub_f16_e32 v91, v100, v99
	v_sub_f16_e32 v33, v101, v33
	v_fma_f16 v97, v87, s21, -v97
	v_fma_f16 v87, v87, s23, -v95
	v_mul_f16_e32 v95, 0x2b26, v103
	v_fma_f16 v95, v91, s21, -v95
	v_fma_f16 v91, v91, s23, -v96
	v_fma_f16 v96, v94, s15, -v106
	v_mul_f16_e32 v94, 0x3b00, v94
	v_fma_f16 v98, v33, s15, -v107
	v_mul_f16_e32 v33, 0x3b00, v33
	v_fma_f16 v94, v108, s22, -v94
	v_fma_f16 v33, v109, s22, -v33
	v_add_f16_e32 v101, v48, v118
	v_add_f16_e32 v103, v116, v92
	v_fma_f16 v96, v104, s19, v96
	v_fma_f16 v94, v104, s19, v94
	;; [unrolled: 1-line block ×4, first 2 shown]
	v_add_f16_e32 v102, v119, v50
	v_add_f16_e32 v104, v26, v125
	;; [unrolled: 1-line block ×8, first 2 shown]
	v_sub_f16_e32 v92, v116, v92
	v_sub_f16_e32 v52, v117, v52
	v_add_f16_e32 v106, v122, v37
	v_sub_f16_e32 v108, v103, v101
	v_sub_f16_e32 v101, v101, v105
	;; [unrolled: 1-line block ×3, first 2 shown]
	v_add_f16_e32 v105, v105, v107
	v_add_f16_e32 v107, v104, v102
	v_sub_f16_e32 v99, v97, v98
	v_add_f16_e32 v97, v98, v97
	v_add_f16_e32 v98, v96, v95
	v_sub_f16_e32 v95, v95, v96
	v_add_f16_e32 v96, v33, v87
	v_sub_f16_e32 v33, v87, v33
	v_sub_f16_e32 v87, v91, v94
	v_add_f16_e32 v91, v94, v91
	v_sub_f16_e32 v94, v112, v115
	v_sub_f16_e32 v48, v48, v118
	;; [unrolled: 1-line block ×7, first 2 shown]
	v_add_f16_e32 v106, v106, v107
	v_add_f16_e32 v107, v52, v92
	v_mul_f16_e32 v101, 0x3a52, v101
	v_mul_f16_e32 v112, 0x2b26, v103
	v_sub_f16_e32 v50, v119, v50
	v_sub_f16_e32 v110, v52, v92
	;; [unrolled: 1-line block ×4, first 2 shown]
	v_add_f16_e32 v48, v107, v48
	v_add_f16_e32 v107, v37, v26
	v_fma_f16 v103, v103, s18, v101
	v_fma_f16 v112, v108, s21, -v112
	v_fma_f16 v101, v108, s23, -v101
	v_mul_f16_e32 v102, 0x3a52, v102
	v_mul_f16_e32 v108, 0x2b26, v104
	v_sub_f16_e32 v111, v37, v26
	v_sub_f16_e32 v37, v50, v37
	;; [unrolled: 1-line block ×3, first 2 shown]
	v_add_f16_e32 v50, v107, v50
	v_add_f16_e32 v107, v27, v105
	v_fma_f16 v104, v104, s18, v102
	v_fma_f16 v108, v109, s21, -v108
	v_fma_f16 v102, v109, s23, -v102
	v_mul_f16_e32 v109, 0xb846, v110
	v_mul_f16_e32 v110, 0x3b00, v92
	v_add_f16_sdwa v27, v27, v106 dst_sel:DWORD dst_unused:UNUSED_PAD src0_sel:WORD_1 src1_sel:DWORD
	v_fma_f16 v92, v92, s15, -v109
	v_fma_f16 v109, v52, s20, v109
	v_fma_f16 v52, v52, s22, -v110
	v_mul_f16_e32 v110, 0xb846, v111
	v_mul_f16_e32 v111, 0x3b00, v26
	v_fma_f16 v105, v105, s14, v107
	v_fma_f16 v26, v26, s15, -v110
	v_fma_f16 v110, v37, s20, v110
	v_fma_f16 v37, v37, s22, -v111
	v_add_f16_e32 v103, v103, v105
	v_add_f16_e32 v111, v112, v105
	;; [unrolled: 1-line block ×3, first 2 shown]
	v_fma_f16 v105, v106, s14, v27
	v_add_f16_e32 v104, v104, v105
	v_add_f16_e32 v106, v108, v105
	;; [unrolled: 1-line block ×3, first 2 shown]
	v_fma_f16 v105, v48, s19, v109
	v_fma_f16 v92, v48, s19, v92
	;; [unrolled: 1-line block ×5, first 2 shown]
	v_add_f16_e32 v108, v92, v106
	v_sub_f16_e32 v92, v106, v92
	v_add_f16_e32 v106, v37, v101
	v_sub_f16_e32 v37, v101, v37
	v_sub_f16_e32 v101, v102, v48
	v_add_f16_e32 v48, v48, v102
	v_add_f16_e32 v102, v52, v103
	v_sub_f16_e32 v52, v103, v52
	v_sub_f16_e32 v103, v104, v105
	v_add_f16_e32 v104, v105, v104
	v_add_f16_e32 v105, v120, v127
	;; [unrolled: 1-line block ×3, first 2 shown]
	v_sub_f16_e32 v35, v49, v35
	v_add_f16_e32 v49, v121, v126
	v_add_f16_e32 v112, v47, v93
	v_sub_f16_e32 v47, v47, v93
	v_add_f16_e32 v93, v123, v124
	v_add_f16_e32 v100, v114, v113
	v_fma_f16 v26, v50, s19, v26
	v_add_f16_e32 v114, v53, v51
	v_sub_f16_e32 v51, v51, v53
	v_add_f16_e32 v53, v49, v105
	v_sub_f16_e32 v115, v49, v105
	v_sub_f16_e32 v105, v105, v93
	;; [unrolled: 1-line block ×4, first 2 shown]
	v_add_f16_e32 v26, v26, v111
	v_sub_f16_e32 v109, v120, v127
	v_sub_f16_e32 v111, v121, v126
	v_sub_f16_e32 v113, v124, v123
	v_add_f16_e32 v53, v93, v53
	v_add_f16_e32 v93, v112, v110
	v_sub_f16_e32 v116, v112, v110
	v_sub_f16_e32 v110, v110, v114
	;; [unrolled: 1-line block ×3, first 2 shown]
	v_mul_f16_e32 v105, 0x3a52, v105
	v_mul_f16_e32 v119, 0x2b26, v49
	v_add_f16_e32 v93, v114, v93
	v_add_f16_e32 v114, v113, v111
	v_sub_f16_e32 v117, v113, v111
	v_sub_f16_e32 v111, v111, v109
	v_fma_f16 v49, v49, s18, v105
	v_fma_f16 v119, v115, s21, -v119
	v_fma_f16 v105, v115, s23, -v105
	v_mul_f16_e32 v110, 0x3a52, v110
	v_mul_f16_e32 v115, 0x2b26, v112
	v_pack_b32_f16 v87, v96, v87
	v_pack_b32_f16 v96, v99, v98
	v_sub_f16_e32 v113, v109, v113
	v_add_f16_e32 v109, v114, v109
	v_add_f16_e32 v114, v51, v47
	v_sub_f16_e32 v118, v51, v47
	v_sub_f16_e32 v47, v47, v35
	v_fma_f16 v112, v112, s18, v110
	v_fma_f16 v115, v116, s21, -v115
	v_fma_f16 v110, v116, s23, -v110
	v_mul_f16_e32 v116, 0xb846, v117
	v_mul_f16_e32 v117, 0x3b00, v111
	ds_write2_b32 v41, v87, v96 offset1:224
	v_pack_b32_f16 v87, v97, v95
	v_pack_b32_f16 v33, v33, v91
	v_sub_f16_e32 v51, v35, v51
	v_add_f16_e32 v35, v114, v35
	v_add_f16_e32 v114, v24, v53
	v_add_f16_sdwa v24, v24, v93 dst_sel:DWORD dst_unused:UNUSED_PAD src0_sel:WORD_1 src1_sel:DWORD
	v_fma_f16 v111, v111, s15, -v116
	v_fma_f16 v116, v113, s20, v116
	v_fma_f16 v113, v113, s22, -v117
	v_mul_f16_e32 v117, 0xb846, v118
	v_mul_f16_e32 v118, 0x3b00, v47
	ds_write2_b32 v40, v87, v33 offset1:224
	v_pack_b32_f16 v33, v94, v100
	v_pack_b32_f16 v27, v107, v27
	v_fma_f16 v47, v47, s15, -v117
	v_fma_f16 v117, v51, s20, v117
	v_fma_f16 v51, v51, s22, -v118
	v_fma_f16 v53, v53, s14, v114
	v_fma_f16 v93, v93, s14, v24
	ds_write2_b32 v45, v33, v27 offset1:224
	v_pack_b32_f16 v27, v102, v103
	v_pack_b32_f16 v33, v106, v101
	v_add_f16_e32 v49, v49, v53
	v_add_f16_e32 v118, v119, v53
	;; [unrolled: 1-line block ×6, first 2 shown]
	v_fma_f16 v110, v109, s19, v116
	v_fma_f16 v111, v109, s19, v111
	;; [unrolled: 1-line block ×6, first 2 shown]
	ds_write2_b32 v43, v27, v33 offset1:224
	v_pack_b32_f16 v27, v50, v108
	v_pack_b32_f16 v26, v26, v92
	v_add_f16_e32 v115, v111, v112
	v_sub_f16_e32 v111, v112, v111
	v_add_f16_e32 v112, v35, v53
	v_sub_f16_e32 v35, v53, v35
	v_sub_f16_e32 v53, v93, v109
	v_add_f16_e32 v93, v109, v93
	v_add_f16_e32 v109, v113, v49
	v_sub_f16_e32 v49, v49, v113
	v_sub_f16_e32 v113, v105, v110
	ds_write2_b32 v42, v27, v26 offset1:224
	v_pack_b32_f16 v26, v37, v48
	v_pack_b32_f16 v27, v52, v104
	v_lshlrev_b32_e32 v87, 2, v25
	v_sub_f16_e32 v51, v118, v47
	ds_write2_b32 v38, v26, v27 offset1:224
	v_pack_b32_f16 v24, v114, v24
	v_pack_b32_f16 v25, v109, v113
	v_add_u32_e32 v26, 0x3100, v87
	v_add_f16_e32 v47, v47, v118
	ds_write2_b32 v26, v24, v25 offset1:224
	v_pack_b32_f16 v24, v112, v53
	v_pack_b32_f16 v25, v51, v115
	v_add_u32_e32 v26, 0x3800, v87
	v_add_f16_e32 v105, v110, v105
	ds_write2_b32 v26, v24, v25 offset1:224
	v_pack_b32_f16 v24, v47, v111
	v_pack_b32_f16 v25, v35, v93
	v_add_u32_e32 v26, 0x3f00, v87
	ds_write2_b32 v26, v24, v25 offset1:224
	v_pack_b32_f16 v24, v49, v105
	ds_write_b32 v87, v24 offset:17920
	v_add_co_u32_e32 v24, vcc, s4, v30
	v_addc_co_u32_e32 v25, vcc, 0, v36, vcc
	s_movk_i32 s5, 0x1000
	v_add_co_u32_e32 v24, vcc, s5, v24
	v_addc_co_u32_e32 v25, vcc, 0, v25, vcc
	v_add_co_u32_e32 v26, vcc, s4, v29
	v_addc_co_u32_e32 v27, vcc, 0, v36, vcc
	;; [unrolled: 2-line block ×3, first 2 shown]
	v_lshlrev_b32_e32 v91, 3, v28
	v_add_co_u32_e32 v28, vcc, s4, v91
	s_waitcnt lgkmcnt(0)
	s_barrier
	global_load_dwordx2 v[26:27], v[24:25], off offset:2144
	s_nop 0
	global_load_dwordx2 v[24:25], v[29:30], off offset:2144
	v_addc_co_u32_e32 v29, vcc, 0, v36, vcc
	v_add_co_u32_e32 v47, vcc, s5, v28
	v_addc_co_u32_e32 v48, vcc, 0, v29, vcc
	v_lshlrev_b32_e32 v28, 3, v31
	v_add_co_u32_e32 v28, vcc, s4, v28
	v_addc_co_u32_e32 v29, vcc, 0, v36, vcc
	v_add_co_u32_e32 v49, vcc, s5, v28
	v_addc_co_u32_e32 v50, vcc, 0, v29, vcc
	;; [unrolled: 2-line block ×4, first 2 shown]
	v_add_co_u32_e32 v34, vcc, s4, v34
	global_load_dwordx2 v[30:31], v[47:48], off offset:2144
	global_load_dwordx2 v[28:29], v[49:50], off offset:2144
	v_addc_co_u32_e32 v35, vcc, 0, v36, vcc
	v_add_co_u32_e32 v34, vcc, s5, v34
	v_mov_b32_e32 v37, 0x2a00
	v_addc_co_u32_e32 v35, vcc, 0, v35, vcc
	v_lshl_add_u32 v37, v69, 3, v37
	global_load_dwordx2 v[32:33], v[32:33], off offset:2144
	v_add_co_u32_e32 v37, vcc, s4, v37
	global_load_dwordx2 v[34:35], v[34:35], off offset:2144
	v_addc_co_u32_e32 v47, vcc, 0, v36, vcc
	v_add_co_u32_e32 v36, vcc, s5, v37
	v_addc_co_u32_e32 v37, vcc, 0, v47, vcc
	global_load_dwordx2 v[36:37], v[36:37], off offset:2144
	ds_read2_b32 v[47:48], v45 offset1:224
	ds_read2_b32 v[45:46], v46 offset1:224
	;; [unrolled: 1-line block ×6, first 2 shown]
	s_waitcnt lgkmcnt(4)
	v_lshrrev_b32_e32 v100, 16, v45
	s_waitcnt lgkmcnt(3)
	v_lshrrev_b32_e32 v101, 16, v49
	v_lshrrev_b32_e32 v102, 16, v46
	;; [unrolled: 1-line block ×3, first 2 shown]
	ds_read2_b32 v[96:97], v39 offset1:224
	ds_read2_b32 v[98:99], v38 offset1:224
	s_waitcnt lgkmcnt(3)
	v_lshrrev_b32_e32 v104, 16, v92
	v_lshrrev_b32_e32 v106, 16, v93
	s_waitcnt lgkmcnt(2)
	v_lshrrev_b32_e32 v105, 16, v94
	s_waitcnt lgkmcnt(1)
	v_lshrrev_b32_e32 v108, 16, v96
	v_lshrrev_b32_e32 v107, 16, v95
	ds_read_b32 v112, v54 offset:17920
	s_waitcnt lgkmcnt(1)
	v_lshrrev_b32_e32 v109, 16, v98
	v_lshrrev_b32_e32 v110, 16, v97
	;; [unrolled: 1-line block ×4, first 2 shown]
	s_movk_i32 s4, 0x3aee
	s_mov_b32 s5, 0xbaee
	s_waitcnt vmcnt(6)
	v_mul_f16_sdwa v113, v100, v27 dst_sel:DWORD dst_unused:UNUSED_PAD src0_sel:DWORD src1_sel:WORD_1
	v_fma_f16 v113, v45, v27, -v113
	v_mul_f16_sdwa v45, v45, v27 dst_sel:DWORD dst_unused:UNUSED_PAD src0_sel:DWORD src1_sel:WORD_1
	s_waitcnt vmcnt(5)
	v_mul_f16_sdwa v114, v49, v24 dst_sel:DWORD dst_unused:UNUSED_PAD src0_sel:DWORD src1_sel:WORD_1
	v_fma_f16 v45, v100, v27, v45
	v_mul_f16_sdwa v100, v102, v25 dst_sel:DWORD dst_unused:UNUSED_PAD src0_sel:DWORD src1_sel:WORD_1
	v_fma_f16 v114, v101, v24, v114
	v_mul_f16_sdwa v101, v101, v24 dst_sel:DWORD dst_unused:UNUSED_PAD src0_sel:DWORD src1_sel:WORD_1
	v_fma_f16 v100, v46, v25, -v100
	v_mul_f16_sdwa v46, v46, v25 dst_sel:DWORD dst_unused:UNUSED_PAD src0_sel:DWORD src1_sel:WORD_1
	v_fma_f16 v49, v49, v24, -v101
	v_fma_f16 v46, v102, v25, v46
	s_waitcnt vmcnt(4)
	v_mul_f16_sdwa v101, v103, v30 dst_sel:DWORD dst_unused:UNUSED_PAD src0_sel:DWORD src1_sel:WORD_1
	v_fma_f16 v101, v50, v30, -v101
	v_mul_f16_sdwa v50, v50, v30 dst_sel:DWORD dst_unused:UNUSED_PAD src0_sel:DWORD src1_sel:WORD_1
	v_mul_f16_sdwa v102, v104, v31 dst_sel:DWORD dst_unused:UNUSED_PAD src0_sel:DWORD src1_sel:WORD_1
	v_fma_f16 v50, v103, v30, v50
	v_fma_f16 v102, v92, v31, -v102
	v_mul_f16_sdwa v92, v92, v31 dst_sel:DWORD dst_unused:UNUSED_PAD src0_sel:DWORD src1_sel:WORD_1
	s_waitcnt vmcnt(3)
	v_mul_f16_sdwa v103, v106, v29 dst_sel:DWORD dst_unused:UNUSED_PAD src0_sel:DWORD src1_sel:WORD_1
	v_fma_f16 v92, v104, v31, v92
	v_fma_f16 v103, v93, v29, -v103
	v_mul_f16_sdwa v93, v93, v29 dst_sel:DWORD dst_unused:UNUSED_PAD src0_sel:DWORD src1_sel:WORD_1
	v_mul_f16_sdwa v104, v94, v28 dst_sel:DWORD dst_unused:UNUSED_PAD src0_sel:DWORD src1_sel:WORD_1
	v_fma_f16 v104, v105, v28, v104
	v_mul_f16_sdwa v105, v105, v28 dst_sel:DWORD dst_unused:UNUSED_PAD src0_sel:DWORD src1_sel:WORD_1
	v_fma_f16 v93, v106, v29, v93
	s_waitcnt vmcnt(2)
	v_mul_f16_sdwa v106, v108, v33 dst_sel:DWORD dst_unused:UNUSED_PAD src0_sel:DWORD src1_sel:WORD_1
	v_fma_f16 v94, v94, v28, -v105
	v_mul_f16_sdwa v105, v107, v32 dst_sel:DWORD dst_unused:UNUSED_PAD src0_sel:DWORD src1_sel:WORD_1
	v_fma_f16 v106, v96, v33, -v106
	;; [unrolled: 2-line block ×3, first 2 shown]
	v_mul_f16_sdwa v95, v95, v32 dst_sel:DWORD dst_unused:UNUSED_PAD src0_sel:DWORD src1_sel:WORD_1
	v_fma_f16 v96, v108, v33, v96
	s_waitcnt vmcnt(1)
	v_mul_f16_sdwa v108, v98, v34 dst_sel:DWORD dst_unused:UNUSED_PAD src0_sel:DWORD src1_sel:WORD_1
	v_fma_f16 v95, v107, v32, v95
	v_mul_f16_sdwa v107, v110, v35 dst_sel:DWORD dst_unused:UNUSED_PAD src0_sel:DWORD src1_sel:WORD_1
	v_fma_f16 v108, v109, v34, v108
	v_mul_f16_sdwa v109, v109, v34 dst_sel:DWORD dst_unused:UNUSED_PAD src0_sel:DWORD src1_sel:WORD_1
	v_fma_f16 v107, v97, v35, -v107
	v_mul_f16_sdwa v97, v97, v35 dst_sel:DWORD dst_unused:UNUSED_PAD src0_sel:DWORD src1_sel:WORD_1
	v_fma_f16 v98, v98, v34, -v109
	s_waitcnt vmcnt(0)
	v_mul_f16_sdwa v109, v111, v36 dst_sel:DWORD dst_unused:UNUSED_PAD src0_sel:DWORD src1_sel:WORD_1
	v_fma_f16 v97, v110, v35, v97
	v_fma_f16 v109, v99, v36, -v109
	v_mul_f16_sdwa v99, v99, v36 dst_sel:DWORD dst_unused:UNUSED_PAD src0_sel:DWORD src1_sel:WORD_1
	s_waitcnt lgkmcnt(0)
	v_lshrrev_b32_e32 v110, 16, v112
	v_fma_f16 v99, v111, v36, v99
	v_mul_f16_sdwa v111, v110, v37 dst_sel:DWORD dst_unused:UNUSED_PAD src0_sel:DWORD src1_sel:WORD_1
	v_fma_f16 v111, v112, v37, -v111
	v_mul_f16_sdwa v112, v112, v37 dst_sel:DWORD dst_unused:UNUSED_PAD src0_sel:DWORD src1_sel:WORD_1
	v_fma_f16 v110, v110, v37, v112
	v_mul_f16_sdwa v112, v48, v26 dst_sel:DWORD dst_unused:UNUSED_PAD src0_sel:DWORD src1_sel:WORD_1
	v_fma_f16 v112, v53, v26, v112
	v_mul_f16_sdwa v53, v53, v26 dst_sel:DWORD dst_unused:UNUSED_PAD src0_sel:DWORD src1_sel:WORD_1
	v_fma_f16 v48, v48, v26, -v53
	v_add_f16_e32 v53, v48, v113
	v_fma_f16 v53, v53, -0.5, v51
	v_sub_f16_e32 v115, v112, v45
	v_fma_f16 v116, v115, s4, v53
	v_fma_f16 v53, v115, s5, v53
	v_lshrrev_b32_e32 v115, 16, v51
	v_add_f16_e32 v117, v115, v112
	v_add_f16_e32 v117, v117, v45
	;; [unrolled: 1-line block ×3, first 2 shown]
	v_fma_f16 v45, v45, -0.5, v115
	v_add_f16_e32 v51, v51, v48
	v_sub_f16_e32 v48, v48, v113
	v_add_f16_e32 v51, v51, v113
	v_fma_f16 v112, v48, s5, v45
	v_fma_f16 v113, v48, s4, v45
	v_add_f16_e32 v45, v49, v100
	v_fma_f16 v45, v45, -0.5, v52
	v_lshrrev_b32_e32 v48, 16, v52
	v_sub_f16_e32 v115, v114, v46
	v_fma_f16 v118, v115, s4, v45
	v_fma_f16 v115, v115, s5, v45
	v_add_f16_e32 v45, v48, v114
	v_add_f16_e32 v119, v45, v46
	;; [unrolled: 1-line block ×3, first 2 shown]
	v_fma_f16 v45, v45, -0.5, v48
	v_sub_f16_e32 v46, v49, v100
	v_add_f16_e32 v52, v52, v49
	v_fma_f16 v114, v46, s5, v45
	v_fma_f16 v120, v46, s4, v45
	ds_read2_b32 v[45:46], v41 offset1:224
	ds_read2_b32 v[48:49], v40 offset1:224
	v_add_f16_e32 v52, v52, v100
	v_pack_b32_f16 v51, v51, v117
	v_pack_b32_f16 v100, v116, v112
	;; [unrolled: 1-line block ×4, first 2 shown]
	ds_write_b32 v54, v100 offset:6272
	ds_write_b32 v54, v53 offset:12544
	ds_write2_b32 v54, v51, v52 offset1:224
	v_add_f16_e32 v51, v101, v102
	s_waitcnt lgkmcnt(4)
	v_fma_f16 v51, v51, -0.5, v45
	v_sub_f16_e32 v52, v50, v92
	v_fma_f16 v53, v52, s4, v51
	v_fma_f16 v51, v52, s5, v51
	v_lshrrev_b32_e32 v52, 16, v45
	v_add_f16_e32 v100, v52, v50
	v_add_f16_e32 v50, v50, v92
	v_fma_f16 v50, v50, -0.5, v52
	v_add_f16_e32 v45, v45, v101
	v_sub_f16_e32 v52, v101, v102
	v_add_f16_e32 v45, v45, v102
	v_fma_f16 v102, v52, s5, v50
	v_fma_f16 v50, v52, s4, v50
	v_add_f16_e32 v52, v94, v103
	v_add_f16_e32 v112, v100, v92
	v_fma_f16 v52, v52, -0.5, v46
	v_lshrrev_b32_e32 v92, 16, v46
	v_sub_f16_e32 v100, v104, v93
	v_fma_f16 v113, v100, s4, v52
	v_fma_f16 v52, v100, s5, v52
	v_add_f16_e32 v100, v92, v104
	v_add_f16_e32 v116, v100, v93
	;; [unrolled: 1-line block ×4, first 2 shown]
	v_fma_f16 v92, v93, -0.5, v92
	v_sub_f16_e32 v93, v94, v103
	v_add_f16_e32 v46, v46, v103
	v_fma_f16 v103, v93, s5, v92
	v_fma_f16 v104, v93, s4, v92
	v_add_f16_e32 v92, v105, v106
	s_waitcnt lgkmcnt(3)
	v_fma_f16 v92, v92, -0.5, v48
	v_sub_f16_e32 v93, v95, v96
	v_fma_f16 v117, v93, s4, v92
	v_fma_f16 v119, v93, s5, v92
	v_lshrrev_b32_e32 v92, 16, v48
	v_add_f16_e32 v93, v92, v95
	v_add_f16_e32 v121, v93, v96
	;; [unrolled: 1-line block ×3, first 2 shown]
	v_fma_f16 v92, v93, -0.5, v92
	v_add_f16_e32 v48, v48, v105
	v_sub_f16_e32 v93, v105, v106
	v_add_f16_e32 v48, v48, v106
	v_fma_f16 v105, v93, s5, v92
	v_fma_f16 v106, v93, s4, v92
	v_add_f16_e32 v92, v98, v107
	v_fma_f16 v92, v92, -0.5, v49
	v_lshrrev_b32_e32 v94, 16, v49
	v_sub_f16_e32 v95, v108, v97
	v_fma_f16 v93, v95, s4, v92
	v_fma_f16 v92, v95, s5, v92
	v_add_f16_e32 v95, v94, v108
	v_add_f16_e32 v122, v95, v97
	;; [unrolled: 1-line block ×3, first 2 shown]
	v_fma_f16 v94, v95, -0.5, v94
	v_sub_f16_e32 v95, v98, v107
	v_add_f16_e32 v49, v49, v98
	v_fma_f16 v98, v95, s5, v94
	v_fma_f16 v96, v95, s4, v94
	v_add_f16_e32 v94, v109, v111
	v_fma_f16 v95, v94, -0.5, v47
	v_lshrrev_b32_e32 v101, 16, v47
	v_sub_f16_e32 v97, v99, v110
	v_fma_f16 v94, v97, s4, v95
	v_fma_f16 v97, v97, s5, v95
	v_add_f16_e32 v95, v101, v99
	v_add_f16_e32 v47, v47, v109
	;; [unrolled: 1-line block ×4, first 2 shown]
	v_fma_f16 v101, v95, -0.5, v101
	v_add_f16_e32 v95, v47, v111
	v_sub_f16_e32 v47, v109, v111
	v_add_f16_e32 v49, v49, v107
	v_fma_f16 v99, v47, s5, v101
	v_fma_f16 v101, v47, s4, v101
	v_pack_b32_f16 v47, v118, v114
	v_pack_b32_f16 v107, v115, v120
	;; [unrolled: 1-line block ×5, first 2 shown]
	ds_write_b32 v54, v107 offset:13440
	ds_write2_b32 v43, v47, v53 offset1:224
	v_pack_b32_f16 v43, v51, v50
	ds_write2_b32 v41, v45, v46 offset1:224
	v_pack_b32_f16 v45, v52, v104
	v_pack_b32_f16 v41, v113, v103
	ds_write2_b32 v44, v43, v45 offset1:224
	v_pack_b32_f16 v44, v117, v105
	;; [unrolled: 3-line block ×4, first 2 shown]
	ds_write2_b32 v39, v41, v42 offset1:224
	v_pack_b32_f16 v39, v95, v100
	v_mov_b32_e32 v107, s17
	v_pack_b32_f16 v40, v93, v98
	ds_write_b32 v54, v39 offset:5376
	v_pack_b32_f16 v39, v94, v99
	v_addc_co_u32_e64 v107, vcc, 0, v107, s[6:7]
	ds_write2_b32 v38, v40, v39 offset1:224
	v_pack_b32_f16 v38, v97, v101
	ds_write_b32 v54, v38 offset:17920
	v_add_co_u32_e32 v38, vcc, s16, v15
	v_addc_co_u32_e32 v39, vcc, 0, v107, vcc
	s_waitcnt lgkmcnt(0)
	s_barrier
	global_load_dword v47, v[38:39], off offset:2432
	s_movk_i32 s4, 0x4980
	v_add_co_u32_e32 v38, vcc, s4, v15
	v_addc_co_u32_e32 v39, vcc, 0, v107, vcc
	global_load_dword v49, v[38:39], off offset:2352
	s_movk_i32 s4, 0x5000
	v_add_co_u32_e32 v40, vcc, s4, v15
	v_addc_co_u32_e32 v41, vcc, 0, v107, vcc
	;; [unrolled: 4-line block ×3, first 2 shown]
	global_load_dword v53, v[42:43], off offset:1296
	global_load_dword v104, v[42:43], off offset:2192
	;; [unrolled: 1-line block ×6, first 2 shown]
	s_movk_i32 s4, 0x7000
	ds_read2_b32 v[43:44], v54 offset1:224
	v_add_co_u32_e32 v40, vcc, s4, v15
	v_addc_co_u32_e32 v41, vcc, 0, v107, vcc
	global_load_dword v108, v[40:41], off offset:1904
	s_waitcnt lgkmcnt(0)
	v_lshrrev_b32_e32 v42, 16, v43
	s_mov_b32 s4, 0x8000
	v_add_co_u32_e32 v45, vcc, s4, v15
	v_addc_co_u32_e32 v46, vcc, 0, v107, vcc
	global_load_dword v107, v[45:46], off offset:160
	global_load_dword v109, v[45:46], off offset:2512
	s_waitcnt vmcnt(11)
	v_mul_f16_sdwa v48, v42, v47 dst_sel:DWORD dst_unused:UNUSED_PAD src0_sel:DWORD src1_sel:WORD_1
	v_fma_f16 v48, v43, v47, -v48
	v_mul_f16_sdwa v43, v43, v47 dst_sel:DWORD dst_unused:UNUSED_PAD src0_sel:DWORD src1_sel:WORD_1
	v_fma_f16 v42, v42, v47, v43
	v_pack_b32_f16 v42, v48, v42
	ds_write_b32 v54, v42
	v_add_u32_e32 v42, 0x900, v54
	v_add_u32_e32 v43, 0x1200, v54
	ds_read2_b32 v[47:48], v42 offset0:12 offset1:236
	ds_read2_b32 v[50:51], v43 offset0:24 offset1:248
	global_load_dword v112, v[45:46], off offset:3408
	global_load_dword v113, v[45:46], off offset:1056
	;; [unrolled: 1-line block ×4, first 2 shown]
	v_add_u32_e32 v46, 0x1b80, v54
	s_waitcnt lgkmcnt(1)
	v_lshrrev_b32_e32 v110, 16, v47
	s_waitcnt vmcnt(14)
	v_mul_f16_sdwa v111, v110, v49 dst_sel:DWORD dst_unused:UNUSED_PAD src0_sel:DWORD src1_sel:WORD_1
	v_mul_f16_sdwa v41, v47, v49 dst_sel:DWORD dst_unused:UNUSED_PAD src0_sel:DWORD src1_sel:WORD_1
	v_fma_f16 v40, v47, v49, -v111
	v_fma_f16 v41, v110, v49, v41
	v_pack_b32_f16 v49, v40, v41
	ds_read2_b32 v[40:41], v46 offset0:4 offset1:228
	s_waitcnt lgkmcnt(1)
	v_lshrrev_b32_e32 v45, 16, v50
	s_waitcnt vmcnt(13)
	v_mul_f16_sdwa v47, v45, v52 dst_sel:DWORD dst_unused:UNUSED_PAD src0_sel:DWORD src1_sel:WORD_1
	v_fma_f16 v47, v50, v52, -v47
	v_mul_f16_sdwa v50, v50, v52 dst_sel:DWORD dst_unused:UNUSED_PAD src0_sel:DWORD src1_sel:WORD_1
	v_fma_f16 v45, v45, v52, v50
	v_pack_b32_f16 v110, v47, v45
	s_waitcnt lgkmcnt(0)
	v_lshrrev_b32_e32 v45, 16, v40
	s_waitcnt vmcnt(12)
	v_mul_f16_sdwa v47, v40, v53 dst_sel:DWORD dst_unused:UNUSED_PAD src0_sel:DWORD src1_sel:WORD_1
	v_fma_f16 v47, v45, v53, v47
	v_mul_f16_sdwa v45, v45, v53 dst_sel:DWORD dst_unused:UNUSED_PAD src0_sel:DWORD src1_sel:WORD_1
	v_fma_f16 v40, v40, v53, -v45
	v_lshrrev_b32_e32 v45, 16, v44
	v_pack_b32_f16 v40, v40, v47
	s_waitcnt vmcnt(8)
	v_mul_f16_sdwa v47, v45, v105 dst_sel:DWORD dst_unused:UNUSED_PAD src0_sel:DWORD src1_sel:WORD_1
	v_fma_f16 v111, v44, v105, -v47
	v_mul_f16_sdwa v44, v44, v105 dst_sel:DWORD dst_unused:UNUSED_PAD src0_sel:DWORD src1_sel:WORD_1
	v_add_u32_e32 v47, 0x2480, v54
	v_fma_f16 v105, v45, v105, v44
	ds_read2_b32 v[44:45], v47 offset0:16 offset1:240
	v_lshrrev_b32_e32 v50, 16, v48
	v_mul_f16_sdwa v52, v50, v103 dst_sel:DWORD dst_unused:UNUSED_PAD src0_sel:DWORD src1_sel:WORD_1
	v_fma_f16 v52, v48, v103, -v52
	v_mul_f16_sdwa v48, v48, v103 dst_sel:DWORD dst_unused:UNUSED_PAD src0_sel:DWORD src1_sel:WORD_1
	v_fma_f16 v48, v50, v103, v48
	s_waitcnt lgkmcnt(0)
	v_lshrrev_b32_e32 v50, 16, v44
	s_waitcnt vmcnt(7)
	v_mul_f16_sdwa v53, v44, v106 dst_sel:DWORD dst_unused:UNUSED_PAD src0_sel:DWORD src1_sel:WORD_1
	v_fma_f16 v53, v50, v106, v53
	v_mul_f16_sdwa v50, v50, v106 dst_sel:DWORD dst_unused:UNUSED_PAD src0_sel:DWORD src1_sel:WORD_1
	v_fma_f16 v44, v44, v106, -v50
	v_pack_b32_f16 v48, v52, v48
	v_add_u32_e32 v50, 0x2d80, v54
	ds_write2_b32 v42, v49, v48 offset0:12 offset1:236
	ds_read2_b32 v[48:49], v50 offset0:28 offset1:252
	v_lshrrev_b32_e32 v52, 16, v51
	v_mul_f16_sdwa v103, v52, v102 dst_sel:DWORD dst_unused:UNUSED_PAD src0_sel:DWORD src1_sel:WORD_1
	v_fma_f16 v103, v51, v102, -v103
	v_mul_f16_sdwa v51, v51, v102 dst_sel:DWORD dst_unused:UNUSED_PAD src0_sel:DWORD src1_sel:WORD_1
	v_fma_f16 v102, v52, v102, v51
	s_waitcnt lgkmcnt(0)
	v_lshrrev_b32_e32 v51, 16, v48
	s_waitcnt vmcnt(6)
	v_mul_f16_sdwa v52, v48, v108 dst_sel:DWORD dst_unused:UNUSED_PAD src0_sel:DWORD src1_sel:WORD_1
	v_mul_f16_sdwa v116, v51, v108 dst_sel:DWORD dst_unused:UNUSED_PAD src0_sel:DWORD src1_sel:WORD_1
	v_fma_f16 v106, v51, v108, v52
	v_fma_f16 v48, v48, v108, -v116
	v_pack_b32_f16 v48, v48, v106
	v_lshrrev_b32_e32 v106, 16, v41
	v_mul_f16_sdwa v108, v106, v104 dst_sel:DWORD dst_unused:UNUSED_PAD src0_sel:DWORD src1_sel:WORD_1
	v_fma_f16 v108, v41, v104, -v108
	v_mul_f16_sdwa v41, v41, v104 dst_sel:DWORD dst_unused:UNUSED_PAD src0_sel:DWORD src1_sel:WORD_1
	v_fma_f16 v41, v106, v104, v41
	v_add_u32_e32 v51, 0x3700, v54
	v_pack_b32_f16 v41, v108, v41
	v_pack_b32_f16 v44, v44, v53
	ds_read2_b32 v[52:53], v51 offset0:8 offset1:232
	ds_write2_b32 v46, v40, v41 offset0:4 offset1:228
	v_lshrrev_b32_e32 v40, 16, v45
	v_pack_b32_f16 v102, v103, v102
	ds_write2_b32 v43, v110, v102 offset0:24 offset1:248
	s_waitcnt lgkmcnt(2)
	v_lshrrev_b32_e32 v102, 16, v52
	s_waitcnt vmcnt(5)
	v_mul_f16_sdwa v103, v52, v107 dst_sel:DWORD dst_unused:UNUSED_PAD src0_sel:DWORD src1_sel:WORD_1
	v_fma_f16 v103, v102, v107, v103
	v_mul_f16_sdwa v102, v102, v107 dst_sel:DWORD dst_unused:UNUSED_PAD src0_sel:DWORD src1_sel:WORD_1
	v_fma_f16 v52, v52, v107, -v102
	v_add_u32_e32 v107, 0x4000, v54
	v_pack_b32_f16 v52, v52, v103
	ds_read2_b32 v[102:103], v107 offset0:20 offset1:244
	s_waitcnt lgkmcnt(0)
	v_lshrrev_b32_e32 v104, 16, v102
	s_waitcnt vmcnt(0)
	v_mul_f16_sdwa v41, v40, v115 dst_sel:DWORD dst_unused:UNUSED_PAD src0_sel:DWORD src1_sel:WORD_1
	v_fma_f16 v41, v45, v115, -v41
	v_mul_f16_sdwa v45, v45, v115 dst_sel:DWORD dst_unused:UNUSED_PAD src0_sel:DWORD src1_sel:WORD_1
	v_fma_f16 v40, v40, v115, v45
	v_pack_b32_f16 v40, v41, v40
	ds_write2_b32 v47, v44, v40 offset0:16 offset1:240
	v_lshrrev_b32_e32 v40, 16, v49
	v_mul_f16_sdwa v41, v40, v114 dst_sel:DWORD dst_unused:UNUSED_PAD src0_sel:DWORD src1_sel:WORD_1
	v_mul_f16_sdwa v44, v49, v114 dst_sel:DWORD dst_unused:UNUSED_PAD src0_sel:DWORD src1_sel:WORD_1
	v_fma_f16 v41, v49, v114, -v41
	v_fma_f16 v40, v40, v114, v44
	v_pack_b32_f16 v40, v41, v40
	ds_write2_b32 v50, v48, v40 offset0:28 offset1:252
	v_lshrrev_b32_e32 v40, 16, v53
	v_mul_f16_sdwa v41, v40, v113 dst_sel:DWORD dst_unused:UNUSED_PAD src0_sel:DWORD src1_sel:WORD_1
	v_mul_f16_sdwa v44, v53, v113 dst_sel:DWORD dst_unused:UNUSED_PAD src0_sel:DWORD src1_sel:WORD_1
	v_fma_f16 v41, v53, v113, -v41
	v_fma_f16 v40, v40, v113, v44
	v_pack_b32_f16 v40, v41, v40
	v_mul_f16_sdwa v106, v102, v109 dst_sel:DWORD dst_unused:UNUSED_PAD src0_sel:DWORD src1_sel:WORD_1
	ds_write2_b32 v51, v52, v40 offset0:8 offset1:232
	v_lshrrev_b32_e32 v40, 16, v103
	v_fma_f16 v106, v104, v109, v106
	v_mul_f16_sdwa v104, v104, v109 dst_sel:DWORD dst_unused:UNUSED_PAD src0_sel:DWORD src1_sel:WORD_1
	v_mul_f16_sdwa v41, v40, v112 dst_sel:DWORD dst_unused:UNUSED_PAD src0_sel:DWORD src1_sel:WORD_1
	;; [unrolled: 1-line block ×3, first 2 shown]
	v_fma_f16 v102, v102, v109, -v104
	v_fma_f16 v41, v103, v112, -v41
	v_fma_f16 v40, v40, v112, v44
	v_pack_b32_f16 v102, v102, v106
	v_pack_b32_f16 v104, v111, v105
	;; [unrolled: 1-line block ×3, first 2 shown]
	ds_write_b32 v54, v104 offset:896
	ds_write2_b32 v107, v102, v40 offset0:20 offset1:244
	s_and_saveexec_b64 s[4:5], s[0:1]
	s_cbranch_execz .LBB0_15
; %bb.14:
	v_add_co_u32_e32 v40, vcc, 0x1000, v38
	v_addc_co_u32_e32 v41, vcc, 0, v39, vcc
	s_movk_i32 s6, 0x2000
	v_add_co_u32_e32 v44, vcc, s6, v38
	global_load_dword v48, v[38:39], off offset:1792
	v_addc_co_u32_e32 v45, vcc, 0, v39, vcc
	s_movk_i32 s6, 0x3000
	global_load_dword v49, v[40:41], off offset:48
	global_load_dword v52, v[40:41], off offset:2400
	;; [unrolled: 1-line block ×4, first 2 shown]
	v_add_co_u32_e32 v40, vcc, s6, v38
	v_addc_co_u32_e32 v41, vcc, 0, v39, vcc
	global_load_dword v44, v[40:41], off offset:1264
	global_load_dword v45, v[40:41], off offset:3616
	v_add_co_u32_e32 v38, vcc, 0x4000, v38
	v_addc_co_u32_e32 v39, vcc, 0, v39, vcc
	global_load_dword v38, v[38:39], off offset:1872
	ds_read_b32 v39, v54 offset:1792
	ds_read_b32 v40, v54 offset:4144
	;; [unrolled: 1-line block ×8, first 2 shown]
	s_waitcnt lgkmcnt(7)
	v_lshrrev_b32_e32 v108, 16, v39
	s_waitcnt lgkmcnt(6)
	v_lshrrev_b32_e32 v109, 16, v40
	s_waitcnt lgkmcnt(5)
	v_lshrrev_b32_e32 v110, 16, v41
	s_waitcnt lgkmcnt(4)
	v_lshrrev_b32_e32 v111, 16, v103
	s_waitcnt lgkmcnt(3)
	v_lshrrev_b32_e32 v112, 16, v104
	s_waitcnt lgkmcnt(2)
	v_lshrrev_b32_e32 v113, 16, v105
	s_waitcnt lgkmcnt(1)
	v_lshrrev_b32_e32 v114, 16, v106
	s_waitcnt lgkmcnt(0)
	v_lshrrev_b32_e32 v115, 16, v107
	s_waitcnt vmcnt(7)
	v_mul_f16_sdwa v116, v108, v48 dst_sel:DWORD dst_unused:UNUSED_PAD src0_sel:DWORD src1_sel:WORD_1
	v_mul_f16_sdwa v117, v39, v48 dst_sel:DWORD dst_unused:UNUSED_PAD src0_sel:DWORD src1_sel:WORD_1
	v_fma_f16 v39, v39, v48, -v116
	v_fma_f16 v48, v108, v48, v117
	v_pack_b32_f16 v39, v39, v48
	s_waitcnt vmcnt(6)
	v_mul_f16_sdwa v48, v109, v49 dst_sel:DWORD dst_unused:UNUSED_PAD src0_sel:DWORD src1_sel:WORD_1
	v_mul_f16_sdwa v108, v40, v49 dst_sel:DWORD dst_unused:UNUSED_PAD src0_sel:DWORD src1_sel:WORD_1
	s_waitcnt vmcnt(5)
	v_mul_f16_sdwa v116, v110, v52 dst_sel:DWORD dst_unused:UNUSED_PAD src0_sel:DWORD src1_sel:WORD_1
	v_mul_f16_sdwa v117, v41, v52 dst_sel:DWORD dst_unused:UNUSED_PAD src0_sel:DWORD src1_sel:WORD_1
	s_waitcnt vmcnt(4)
	v_mul_f16_sdwa v118, v111, v53 dst_sel:DWORD dst_unused:UNUSED_PAD src0_sel:DWORD src1_sel:WORD_1
	v_mul_f16_sdwa v119, v103, v53 dst_sel:DWORD dst_unused:UNUSED_PAD src0_sel:DWORD src1_sel:WORD_1
	s_waitcnt vmcnt(3)
	v_mul_f16_sdwa v120, v112, v102 dst_sel:DWORD dst_unused:UNUSED_PAD src0_sel:DWORD src1_sel:WORD_1
	v_mul_f16_sdwa v121, v104, v102 dst_sel:DWORD dst_unused:UNUSED_PAD src0_sel:DWORD src1_sel:WORD_1
	s_waitcnt vmcnt(2)
	v_mul_f16_sdwa v122, v113, v44 dst_sel:DWORD dst_unused:UNUSED_PAD src0_sel:DWORD src1_sel:WORD_1
	v_mul_f16_sdwa v123, v105, v44 dst_sel:DWORD dst_unused:UNUSED_PAD src0_sel:DWORD src1_sel:WORD_1
	s_waitcnt vmcnt(1)
	v_mul_f16_sdwa v124, v114, v45 dst_sel:DWORD dst_unused:UNUSED_PAD src0_sel:DWORD src1_sel:WORD_1
	v_mul_f16_sdwa v125, v106, v45 dst_sel:DWORD dst_unused:UNUSED_PAD src0_sel:DWORD src1_sel:WORD_1
	ds_write_b32 v54, v39 offset:1792
	v_fma_f16 v39, v40, v49, -v48
	v_fma_f16 v40, v109, v49, v108
	v_fma_f16 v41, v41, v52, -v116
	v_fma_f16 v48, v110, v52, v117
	;; [unrolled: 2-line block ×6, first 2 shown]
	v_pack_b32_f16 v39, v39, v40
	v_pack_b32_f16 v40, v41, v48
	;; [unrolled: 1-line block ×6, first 2 shown]
	ds_write_b32 v54, v39 offset:4144
	ds_write_b32 v54, v40 offset:6496
	;; [unrolled: 1-line block ×6, first 2 shown]
	s_waitcnt vmcnt(0)
	v_mul_f16_sdwa v39, v115, v38 dst_sel:DWORD dst_unused:UNUSED_PAD src0_sel:DWORD src1_sel:WORD_1
	v_mul_f16_sdwa v40, v107, v38 dst_sel:DWORD dst_unused:UNUSED_PAD src0_sel:DWORD src1_sel:WORD_1
	v_fma_f16 v39, v107, v38, -v39
	v_fma_f16 v38, v115, v38, v40
	v_pack_b32_f16 v38, v39, v38
	ds_write_b32 v54, v38 offset:18256
.LBB0_15:
	s_or_b64 exec, exec, s[4:5]
	s_waitcnt lgkmcnt(0)
	s_barrier
	ds_read2_b32 v[40:41], v54 offset1:224
	ds_read2_b32 v[38:39], v42 offset0:12 offset1:236
	ds_read2_b32 v[44:45], v43 offset0:24 offset1:248
	;; [unrolled: 1-line block ×6, first 2 shown]
	v_add_u32_e32 v52, 0x4000, v54
	ds_read2_b32 v[52:53], v52 offset0:20 offset1:244
	s_and_saveexec_b64 s[4:5], s[0:1]
	s_cbranch_execz .LBB0_17
; %bb.16:
	ds_read_b32 v93, v54 offset:1792
	ds_read_b32 v92, v54 offset:4144
	;; [unrolled: 1-line block ×8, first 2 shown]
	s_waitcnt lgkmcnt(7)
	v_lshrrev_b32_e32 v98, 16, v93
	s_waitcnt lgkmcnt(6)
	v_lshrrev_b32_e32 v96, 16, v92
	;; [unrolled: 2-line block ×8, first 2 shown]
.LBB0_17:
	s_or_b64 exec, exec, s[4:5]
	s_waitcnt lgkmcnt(3)
	v_pk_add_f16 v102, v40, v48 neg_lo:[0,1] neg_hi:[0,1]
	s_waitcnt lgkmcnt(2)
	v_pk_add_f16 v104, v38, v46 neg_lo:[0,1] neg_hi:[0,1]
	;; [unrolled: 2-line block ×4, first 2 shown]
	v_lshrrev_b32_e32 v48, 16, v102
	v_lshrrev_b32_e32 v107, 16, v104
	v_add_f16_sdwa v46, v102, v103 dst_sel:DWORD dst_unused:UNUSED_PAD src0_sel:DWORD src1_sel:WORD_1
	v_sub_f16_e32 v50, v48, v103
	v_add_f16_sdwa v106, v104, v105 dst_sel:DWORD dst_unused:UNUSED_PAD src0_sel:DWORD src1_sel:WORD_1
	v_sub_f16_e32 v108, v107, v105
	v_fma_f16 v52, v102, 2.0, -v46
	v_fma_f16 v48, v48, 2.0, -v50
	;; [unrolled: 1-line block ×4, first 2 shown]
	s_mov_b32 s4, 0xb9a8
	v_fma_f16 v110, v109, s4, v52
	v_fma_f16 v111, v107, s4, v48
	s_movk_i32 s5, 0x39a8
	v_fma_f16 v107, v107, s5, v110
	v_fma_f16 v109, v109, s4, v111
	v_fma_f16 v110, v52, 2.0, -v107
	v_fma_f16 v111, v48, 2.0, -v109
	v_fma_f16 v48, v106, s5, v46
	v_fma_f16 v52, v108, s5, v50
	v_pk_add_f16 v114, v41, v49 neg_lo:[0,1] neg_hi:[0,1]
	v_pk_add_f16 v116, v39, v47 neg_lo:[0,1] neg_hi:[0,1]
	v_fma_f16 v108, v108, s5, v48
	v_fma_f16 v106, v106, s4, v52
	v_pk_add_f16 v115, v45, v51 neg_lo:[0,1] neg_hi:[0,1]
	v_pk_add_f16 v117, v43, v53 neg_lo:[0,1] neg_hi:[0,1]
	v_lshrrev_b32_e32 v47, 16, v114
	v_lshrrev_b32_e32 v51, 16, v116
	v_fma_f16 v112, v46, 2.0, -v108
	v_fma_f16 v113, v50, 2.0, -v106
	v_add_f16_sdwa v46, v114, v115 dst_sel:DWORD dst_unused:UNUSED_PAD src0_sel:DWORD src1_sel:WORD_1
	v_sub_f16_e32 v48, v47, v115
	v_add_f16_sdwa v50, v116, v117 dst_sel:DWORD dst_unused:UNUSED_PAD src0_sel:DWORD src1_sel:WORD_1
	v_sub_f16_e32 v52, v51, v117
	v_fma_f16 v49, v114, 2.0, -v46
	v_fma_f16 v47, v47, 2.0, -v48
	;; [unrolled: 1-line block ×4, first 2 shown]
	v_fma_f16 v118, v53, s4, v49
	v_fma_f16 v119, v51, s4, v47
	;; [unrolled: 1-line block ×4, first 2 shown]
	v_fma_f16 v120, v49, 2.0, -v118
	v_fma_f16 v121, v47, 2.0, -v119
	v_fma_f16 v47, v50, s5, v46
	v_fma_f16 v49, v52, s5, v48
	;; [unrolled: 1-line block ×4, first 2 shown]
	v_sub_f16_e32 v50, v93, v97
	v_sub_f16_e32 v51, v98, v101
	;; [unrolled: 1-line block ×6, first 2 shown]
	v_fma_f16 v124, v46, 2.0, -v122
	v_fma_f16 v46, v93, 2.0, -v50
	;; [unrolled: 1-line block ×4, first 2 shown]
	v_sub_f16_e32 v84, v92, v84
	v_fma_f16 v90, v96, 2.0, -v86
	v_sub_f16_e32 v85, v94, v85
	v_fma_f16 v93, v99, 2.0, -v88
	v_fma_f16 v125, v48, 2.0, -v123
	;; [unrolled: 1-line block ×5, first 2 shown]
	v_sub_f16_e32 v49, v47, v49
	v_sub_f16_e32 v53, v51, v53
	;; [unrolled: 1-line block ×5, first 2 shown]
	v_fma_f16 v47, v47, 2.0, -v49
	v_add_f16_e32 v52, v52, v50
	v_fma_f16 v51, v51, 2.0, -v53
	v_sub_f16_e32 v92, v89, v92
	v_fma_f16 v90, v90, 2.0, -v93
	v_add_f16_e32 v94, v88, v84
	v_fma_f16 v86, v86, 2.0, -v95
	v_pk_fma_f16 v40, v40, 2.0, v102 op_sel_hi:[1,0,1] neg_lo:[0,0,1] neg_hi:[0,0,1]
	v_pk_fma_f16 v44, v44, 2.0, v103 op_sel_hi:[1,0,1] neg_lo:[0,0,1] neg_hi:[0,0,1]
	;; [unrolled: 1-line block ×4, first 2 shown]
	v_fma_f16 v46, v46, 2.0, -v48
	v_fma_f16 v50, v50, 2.0, -v52
	;; [unrolled: 1-line block ×4, first 2 shown]
	v_sub_f16_e32 v85, v47, v90
	v_fma_f16 v90, v86, s4, v51
	v_pk_add_f16 v44, v40, v44 neg_lo:[0,1] neg_hi:[0,1]
	v_pk_add_f16 v42, v38, v42 neg_lo:[0,1] neg_hi:[0,1]
	v_sub_f16_e32 v84, v46, v89
	v_fma_f16 v89, v88, s4, v50
	v_fma_f16 v90, v88, s4, v90
	v_add_f16_e32 v88, v93, v48
	v_fma_f16 v93, v95, s5, v53
	v_pk_fma_f16 v40, v40, 2.0, v44 op_sel_hi:[1,0,1] neg_lo:[0,0,1] neg_hi:[0,0,1]
	v_pk_fma_f16 v38, v38, 2.0, v42 op_sel_hi:[1,0,1] neg_lo:[0,0,1] neg_hi:[0,0,1]
	v_fma_f16 v86, v86, s5, v89
	v_fma_f16 v89, v94, s5, v52
	;; [unrolled: 1-line block ×3, first 2 shown]
	v_pk_add_f16 v94, v40, v38 neg_lo:[0,1] neg_hi:[0,1]
	v_fma_f16 v89, v95, s5, v89
	v_pk_fma_f16 v95, v40, 2.0, v94 op_sel_hi:[1,0,1] neg_lo:[0,0,1] neg_hi:[0,0,1]
	v_lshrrev_b32_e32 v40, 16, v44
	v_add_f16_sdwa v38, v44, v42 dst_sel:DWORD dst_unused:UNUSED_PAD src0_sel:DWORD src1_sel:WORD_1
	v_sub_f16_e32 v42, v40, v42
	v_fma_f16 v44, v44, 2.0, -v38
	v_fma_f16 v40, v40, 2.0, -v42
	v_pack_b32_f16 v98, v112, v113
	v_pack_b32_f16 v97, v44, v40
	v_pack_b32_f16 v96, v110, v111
	s_barrier
	ds_write_b128 v73, v[95:98]
	v_pack_b32_f16 v96, v38, v42
	v_pk_fma_f16 v38, v41, 2.0, v114 op_sel_hi:[1,0,1] neg_lo:[0,0,1] neg_hi:[0,0,1]
	v_pk_fma_f16 v40, v45, 2.0, v115 op_sel_hi:[1,0,1] neg_lo:[0,0,1] neg_hi:[0,0,1]
	;; [unrolled: 1-line block ×4, first 2 shown]
	v_pk_add_f16 v40, v38, v40 neg_lo:[0,1] neg_hi:[0,1]
	v_pk_add_f16 v41, v39, v41 neg_lo:[0,1] neg_hi:[0,1]
	v_pk_fma_f16 v42, v38, 2.0, v40 op_sel_hi:[1,0,1] neg_lo:[0,0,1] neg_hi:[0,0,1]
	v_pk_fma_f16 v38, v39, 2.0, v41 op_sel_hi:[1,0,1] neg_lo:[0,0,1] neg_hi:[0,0,1]
	v_pk_add_f16 v38, v42, v38 neg_lo:[0,1] neg_hi:[0,1]
	v_pk_fma_f16 v39, v42, 2.0, v38 op_sel_hi:[1,0,1] neg_lo:[0,0,1] neg_hi:[0,0,1]
	v_lshrrev_b32_e32 v42, 16, v40
	v_add_f16_sdwa v43, v40, v41 dst_sel:DWORD dst_unused:UNUSED_PAD src0_sel:DWORD src1_sel:WORD_1
	v_sub_f16_e32 v44, v42, v41
	v_fma_f16 v40, v40, 2.0, -v43
	v_fma_f16 v41, v42, 2.0, -v44
	v_pack_b32_f16 v97, v108, v106
	v_pack_b32_f16 v95, v107, v109
	;; [unrolled: 1-line block ×5, first 2 shown]
	v_sub_f16_e32 v92, v49, v92
	ds_write_b128 v73, v[94:97] offset:16
	ds_write_b128 v74, v[39:42]
	v_pack_b32_f16 v41, v122, v123
	v_pack_b32_f16 v40, v43, v44
	;; [unrolled: 1-line block ×3, first 2 shown]
	ds_write_b128 v74, v[38:41] offset:16
	s_and_saveexec_b64 s[4:5], s[0:1]
	s_cbranch_execz .LBB0_19
; %bb.18:
	v_fma_f16 v38, v52, 2.0, -v89
	v_fma_f16 v39, v53, 2.0, -v93
	v_fma_f16 v40, v48, 2.0, -v88
	v_fma_f16 v42, v49, 2.0, -v92
	v_fma_f16 v43, v50, 2.0, -v86
	v_fma_f16 v44, v51, 2.0, -v90
	v_fma_f16 v45, v46, 2.0, -v84
	v_fma_f16 v46, v47, 2.0, -v85
	v_lshlrev_b32_e32 v47, 2, v91
	v_pack_b32_f16 v41, v38, v39
	v_pack_b32_f16 v40, v40, v42
	;; [unrolled: 1-line block ×4, first 2 shown]
	s_mov_b32 s6, 0x5040100
	ds_write_b128 v47, v[38:41]
	v_perm_b32 v41, v93, v89, s6
	v_perm_b32 v40, v92, v88, s6
	;; [unrolled: 1-line block ×4, first 2 shown]
	ds_write_b128 v47, v[38:41] offset:16
.LBB0_19:
	s_or_b64 exec, exec, s[4:5]
	v_add_u32_e32 v38, 0x1200, v54
	s_waitcnt lgkmcnt(0)
	s_barrier
	ds_read2_b32 v[48:49], v38 offset0:24 offset1:248
	v_add_u32_e32 v38, 0x2480, v54
	ds_read2_b32 v[50:51], v38 offset0:16 offset1:240
	v_add_u32_e32 v38, 0x3700, v54
	ds_read2_b32 v[52:53], v38 offset0:8 offset1:232
	v_add_u32_e32 v38, 0x700, v54
	v_add_u32_e32 v42, 0x1900, v54
	v_add_u32_e32 v44, 0x2b80, v54
	;; [unrolled: 1-line block ×3, first 2 shown]
	ds_read2_b32 v[40:41], v54 offset1:224
	ds_read2_b32 v[38:39], v38 offset1:224
	ds_read2_b32 v[42:43], v42 offset0:24 offset1:248
	ds_read2_b32 v[44:45], v44 offset0:16 offset1:240
	;; [unrolled: 1-line block ×3, first 2 shown]
	ds_read_b32 v73, v54 offset:3584
	ds_read_b32 v94, v54 offset:8288
	ds_read_b32 v91, v54 offset:12992
	ds_read_b32 v74, v54 offset:17696
	s_and_saveexec_b64 s[4:5], s[2:3]
	s_cbranch_execz .LBB0_21
; %bb.20:
	ds_read_b32 v84, v54 offset:4480
	ds_read_b32 v86, v54 offset:9184
	;; [unrolled: 1-line block ×4, first 2 shown]
	s_waitcnt lgkmcnt(3)
	v_lshrrev_b32_e32 v85, 16, v84
	s_waitcnt lgkmcnt(2)
	v_lshrrev_b32_e32 v90, 16, v86
	s_waitcnt lgkmcnt(1)
	v_lshrrev_b32_e32 v92, 16, v88
	s_waitcnt lgkmcnt(0)
	v_lshrrev_b32_e32 v93, 16, v89
.LBB0_21:
	s_or_b64 exec, exec, s[4:5]
	s_waitcnt lgkmcnt(11)
	v_lshrrev_b32_e32 v96, 16, v48
	v_mul_f16_sdwa v115, v12, v96 dst_sel:DWORD dst_unused:UNUSED_PAD src0_sel:WORD_1 src1_sel:DWORD
	s_waitcnt lgkmcnt(10)
	v_lshrrev_b32_e32 v97, 16, v50
	v_fma_f16 v115, v12, v48, v115
	v_mul_f16_sdwa v48, v12, v48 dst_sel:DWORD dst_unused:UNUSED_PAD src0_sel:WORD_1 src1_sel:DWORD
	v_fma_f16 v48, v12, v96, -v48
	v_mul_f16_sdwa v96, v13, v97 dst_sel:DWORD dst_unused:UNUSED_PAD src0_sel:WORD_1 src1_sel:DWORD
	s_waitcnt lgkmcnt(9)
	v_lshrrev_b32_e32 v98, 16, v52
	v_fma_f16 v96, v13, v50, v96
	v_mul_f16_sdwa v50, v13, v50 dst_sel:DWORD dst_unused:UNUSED_PAD src0_sel:WORD_1 src1_sel:DWORD
	v_fma_f16 v50, v13, v97, -v50
	v_mul_f16_sdwa v97, v14, v98 dst_sel:DWORD dst_unused:UNUSED_PAD src0_sel:WORD_1 src1_sel:DWORD
	v_lshrrev_b32_e32 v100, 16, v49
	v_fma_f16 v97, v14, v52, v97
	v_mul_f16_sdwa v52, v14, v52 dst_sel:DWORD dst_unused:UNUSED_PAD src0_sel:WORD_1 src1_sel:DWORD
	v_fma_f16 v52, v14, v98, -v52
	v_mul_f16_sdwa v98, v12, v100 dst_sel:DWORD dst_unused:UNUSED_PAD src0_sel:WORD_1 src1_sel:DWORD
	;; [unrolled: 5-line block ×4, first 2 shown]
	s_waitcnt lgkmcnt(6)
	v_lshrrev_b32_e32 v104, 16, v42
	v_fma_f16 v101, v14, v53, v101
	v_mul_f16_sdwa v53, v14, v53 dst_sel:DWORD dst_unused:UNUSED_PAD src0_sel:WORD_1 src1_sel:DWORD
	v_fma_f16 v53, v14, v102, -v53
	v_mul_f16_sdwa v102, v12, v104 dst_sel:DWORD dst_unused:UNUSED_PAD src0_sel:WORD_1 src1_sel:DWORD
	s_waitcnt lgkmcnt(5)
	v_lshrrev_b32_e32 v105, 16, v44
	v_fma_f16 v102, v12, v42, v102
	v_mul_f16_sdwa v42, v12, v42 dst_sel:DWORD dst_unused:UNUSED_PAD src0_sel:WORD_1 src1_sel:DWORD
	v_fma_f16 v42, v12, v104, -v42
	v_mul_f16_sdwa v104, v13, v105 dst_sel:DWORD dst_unused:UNUSED_PAD src0_sel:WORD_1 src1_sel:DWORD
	;; [unrolled: 6-line block ×3, first 2 shown]
	v_lshrrev_b32_e32 v108, 16, v43
	v_fma_f16 v105, v14, v46, v105
	v_mul_f16_sdwa v46, v14, v46 dst_sel:DWORD dst_unused:UNUSED_PAD src0_sel:WORD_1 src1_sel:DWORD
	v_fma_f16 v46, v14, v106, -v46
	v_mul_f16_sdwa v106, v12, v108 dst_sel:DWORD dst_unused:UNUSED_PAD src0_sel:WORD_1 src1_sel:DWORD
	v_lshrrev_b32_e32 v109, 16, v45
	v_fma_f16 v106, v12, v43, v106
	v_mul_f16_sdwa v43, v12, v43 dst_sel:DWORD dst_unused:UNUSED_PAD src0_sel:WORD_1 src1_sel:DWORD
	v_fma_f16 v43, v12, v108, -v43
	v_mul_f16_sdwa v108, v13, v109 dst_sel:DWORD dst_unused:UNUSED_PAD src0_sel:WORD_1 src1_sel:DWORD
	;; [unrolled: 5-line block ×3, first 2 shown]
	s_waitcnt lgkmcnt(2)
	v_lshrrev_b32_e32 v112, 16, v94
	v_fma_f16 v109, v14, v47, v109
	v_mul_f16_sdwa v47, v14, v47 dst_sel:DWORD dst_unused:UNUSED_PAD src0_sel:WORD_1 src1_sel:DWORD
	v_fma_f16 v47, v14, v110, -v47
	v_mul_f16_sdwa v110, v12, v112 dst_sel:DWORD dst_unused:UNUSED_PAD src0_sel:WORD_1 src1_sel:DWORD
	s_waitcnt lgkmcnt(1)
	v_lshrrev_b32_e32 v113, 16, v91
	v_fma_f16 v110, v12, v94, v110
	v_mul_f16_sdwa v94, v12, v94 dst_sel:DWORD dst_unused:UNUSED_PAD src0_sel:WORD_1 src1_sel:DWORD
	v_fma_f16 v94, v12, v112, -v94
	v_mul_f16_sdwa v112, v13, v113 dst_sel:DWORD dst_unused:UNUSED_PAD src0_sel:WORD_1 src1_sel:DWORD
	s_waitcnt lgkmcnt(0)
	v_lshrrev_b32_e32 v114, 16, v74
	v_fma_f16 v112, v13, v91, v112
	v_mul_f16_sdwa v91, v13, v91 dst_sel:DWORD dst_unused:UNUSED_PAD src0_sel:WORD_1 src1_sel:DWORD
	v_lshrrev_b32_e32 v95, 16, v40
	v_fma_f16 v91, v13, v113, -v91
	v_mul_f16_sdwa v113, v14, v114 dst_sel:DWORD dst_unused:UNUSED_PAD src0_sel:WORD_1 src1_sel:DWORD
	v_fma_f16 v113, v14, v74, v113
	v_mul_f16_sdwa v74, v14, v74 dst_sel:DWORD dst_unused:UNUSED_PAD src0_sel:WORD_1 src1_sel:DWORD
	v_sub_f16_e32 v96, v40, v96
	v_sub_f16_e32 v50, v95, v50
	;; [unrolled: 1-line block ×4, first 2 shown]
	v_lshrrev_b32_e32 v99, 16, v41
	v_fma_f16 v74, v14, v114, -v74
	v_fma_f16 v40, v40, 2.0, -v96
	v_fma_f16 v95, v95, 2.0, -v50
	;; [unrolled: 1-line block ×4, first 2 shown]
	v_sub_f16_e32 v114, v40, v114
	v_sub_f16_e32 v48, v95, v48
	v_add_f16_e32 v52, v96, v52
	v_sub_f16_e32 v97, v50, v97
	v_sub_f16_e32 v100, v41, v100
	;; [unrolled: 1-line block ×5, first 2 shown]
	v_lshrrev_b32_e32 v103, 16, v38
	v_fma_f16 v40, v40, 2.0, -v114
	v_fma_f16 v95, v95, 2.0, -v48
	;; [unrolled: 1-line block ×8, first 2 shown]
	v_sub_f16_e32 v98, v41, v98
	v_sub_f16_e32 v49, v99, v49
	v_add_f16_e32 v53, v100, v53
	v_sub_f16_e32 v101, v51, v101
	v_sub_f16_e32 v104, v38, v104
	;; [unrolled: 1-line block ×5, first 2 shown]
	v_pack_b32_f16 v40, v40, v95
	v_pack_b32_f16 v50, v96, v50
	v_lshrrev_b32_e32 v107, 16, v39
	v_fma_f16 v41, v41, 2.0, -v98
	v_fma_f16 v99, v99, 2.0, -v49
	;; [unrolled: 1-line block ×8, first 2 shown]
	s_barrier
	ds_write2_b32 v76, v40, v50 offset1:8
	v_pack_b32_f16 v40, v114, v48
	v_pack_b32_f16 v48, v52, v97
	v_sub_f16_e32 v102, v38, v102
	v_sub_f16_e32 v42, v103, v42
	v_add_f16_e32 v46, v104, v46
	v_sub_f16_e32 v105, v44, v105
	v_sub_f16_e32 v108, v39, v108
	v_sub_f16_e32 v45, v107, v45
	v_sub_f16_e32 v109, v106, v109
	v_sub_f16_e32 v47, v43, v47
	ds_write2_b32 v76, v40, v48 offset0:16 offset1:24
	v_pack_b32_f16 v40, v41, v99
	v_pack_b32_f16 v41, v100, v51
	v_lshrrev_b32_e32 v111, 16, v73
	v_fma_f16 v38, v38, 2.0, -v102
	v_fma_f16 v103, v103, 2.0, -v42
	;; [unrolled: 1-line block ×8, first 2 shown]
	ds_write2_b32 v77, v40, v41 offset1:8
	v_pack_b32_f16 v40, v98, v49
	v_pack_b32_f16 v41, v53, v101
	v_sub_f16_e32 v106, v39, v106
	v_sub_f16_e32 v43, v107, v43
	v_add_f16_e32 v47, v108, v47
	v_sub_f16_e32 v109, v45, v109
	v_sub_f16_e32 v112, v73, v112
	;; [unrolled: 1-line block ×5, first 2 shown]
	ds_write2_b32 v77, v40, v41 offset0:16 offset1:24
	v_pack_b32_f16 v38, v38, v103
	v_pack_b32_f16 v40, v104, v44
	v_fma_f16 v39, v39, 2.0, -v106
	v_fma_f16 v107, v107, 2.0, -v43
	;; [unrolled: 1-line block ×8, first 2 shown]
	ds_write2_b32 v78, v38, v40 offset1:8
	v_pack_b32_f16 v38, v102, v42
	v_pack_b32_f16 v40, v46, v105
	v_sub_f16_e32 v110, v73, v110
	v_sub_f16_e32 v94, v111, v94
	v_add_f16_e32 v74, v112, v74
	v_sub_f16_e32 v113, v91, v113
	ds_write2_b32 v78, v38, v40 offset0:16 offset1:24
	v_pack_b32_f16 v38, v39, v107
	v_pack_b32_f16 v39, v108, v45
	v_fma_f16 v73, v73, 2.0, -v110
	v_fma_f16 v111, v111, 2.0, -v94
	;; [unrolled: 1-line block ×4, first 2 shown]
	ds_write2_b32 v79, v38, v39 offset1:8
	v_pack_b32_f16 v38, v106, v43
	v_pack_b32_f16 v39, v47, v109
	ds_write2_b32 v79, v38, v39 offset0:16 offset1:24
	v_pack_b32_f16 v38, v73, v111
	v_pack_b32_f16 v39, v112, v91
	ds_write2_b32 v80, v38, v39 offset1:8
	v_pack_b32_f16 v38, v110, v94
	v_pack_b32_f16 v39, v74, v113
	ds_write2_b32 v80, v38, v39 offset0:16 offset1:24
	s_and_saveexec_b64 s[4:5], s[2:3]
	s_cbranch_execz .LBB0_23
; %bb.22:
	v_mul_f16_sdwa v38, v13, v92 dst_sel:DWORD dst_unused:UNUSED_PAD src0_sel:WORD_1 src1_sel:DWORD
	v_mul_f16_sdwa v43, v13, v88 dst_sel:DWORD dst_unused:UNUSED_PAD src0_sel:WORD_1 src1_sel:DWORD
	v_fma_f16 v38, v13, v88, v38
	v_mul_f16_sdwa v39, v12, v86 dst_sel:DWORD dst_unused:UNUSED_PAD src0_sel:WORD_1 src1_sel:DWORD
	v_mul_f16_sdwa v40, v14, v89 dst_sel:DWORD dst_unused:UNUSED_PAD src0_sel:WORD_1 src1_sel:DWORD
	v_fma_f16 v13, v13, v92, -v43
	v_mul_f16_sdwa v43, v12, v90 dst_sel:DWORD dst_unused:UNUSED_PAD src0_sel:WORD_1 src1_sel:DWORD
	v_fma_f16 v39, v12, v90, -v39
	v_fma_f16 v40, v14, v93, -v40
	v_fma_f16 v12, v12, v86, v43
	v_mul_f16_sdwa v43, v14, v93 dst_sel:DWORD dst_unused:UNUSED_PAD src0_sel:WORD_1 src1_sel:DWORD
	v_sub_f16_e32 v38, v84, v38
	v_sub_f16_e32 v40, v39, v40
	v_fma_f16 v14, v14, v89, v43
	v_add_f16_e32 v41, v38, v40
	v_sub_f16_e32 v14, v12, v14
	v_fma_f16 v42, v38, 2.0, -v41
	v_sub_f16_e32 v13, v85, v13
	v_fma_f16 v38, v84, 2.0, -v38
	v_fma_f16 v12, v12, 2.0, -v14
	v_sub_f16_e32 v43, v13, v14
	v_sub_f16_e32 v12, v38, v12
	v_fma_f16 v44, v13, 2.0, -v43
	v_fma_f16 v14, v38, 2.0, -v12
	;; [unrolled: 1-line block ×4, first 2 shown]
	v_sub_f16_e32 v38, v13, v38
	s_movk_i32 s2, 0x13e0
	v_fma_f16 v13, v13, 2.0, -v38
	v_and_or_b32 v39, v75, s2, v72
	v_lshlrev_b32_e32 v39, 2, v39
	v_pack_b32_f16 v13, v14, v13
	v_pack_b32_f16 v14, v42, v44
	ds_write2_b32 v39, v13, v14 offset1:8
	v_pack_b32_f16 v12, v12, v38
	v_pack_b32_f16 v13, v41, v43
	ds_write2_b32 v39, v12, v13 offset0:16 offset1:24
.LBB0_23:
	s_or_b64 exec, exec, s[4:5]
	v_add_u32_e32 v12, 0x700, v54
	s_waitcnt lgkmcnt(0)
	s_barrier
	ds_read2_b32 v[44:45], v12 offset1:224
	ds_read2_b32 v[46:47], v54 offset1:224
	v_add_u32_e32 v42, 0x1500, v54
	ds_read2_b32 v[48:49], v42 offset1:224
	v_add_u32_e32 v14, 0x1c00, v54
	ds_read2_b32 v[50:51], v14 offset1:224
	s_waitcnt lgkmcnt(3)
	v_lshrrev_b32_e32 v80, 16, v45
	v_add_u32_e32 v13, 0x2a00, v54
	ds_read2_b32 v[52:53], v13 offset1:224
	v_mul_f16_sdwa v105, v0, v80 dst_sel:DWORD dst_unused:UNUSED_PAD src0_sel:WORD_1 src1_sel:DWORD
	v_add_u32_e32 v43, 0x3100, v54
	s_waitcnt lgkmcnt(2)
	v_lshrrev_b32_e32 v86, 16, v48
	v_fma_f16 v105, v0, v45, v105
	v_mul_f16_sdwa v45, v0, v45 dst_sel:DWORD dst_unused:UNUSED_PAD src0_sel:WORD_1 src1_sel:DWORD
	ds_read2_b32 v[72:73], v43 offset1:224
	v_fma_f16 v45, v0, v80, -v45
	v_mul_f16_sdwa v80, v1, v86 dst_sel:DWORD dst_unused:UNUSED_PAD src0_sel:WORD_1 src1_sel:DWORD
	v_add_u32_e32 v38, 0x3f00, v54
	s_waitcnt lgkmcnt(2)
	v_lshrrev_b32_e32 v88, 16, v51
	v_fma_f16 v80, v1, v48, v80
	v_mul_f16_sdwa v48, v1, v48 dst_sel:DWORD dst_unused:UNUSED_PAD src0_sel:WORD_1 src1_sel:DWORD
	ds_read2_b32 v[74:75], v38 offset1:224
	v_fma_f16 v48, v1, v86, -v48
	v_mul_f16_sdwa v86, v2, v88 dst_sel:DWORD dst_unused:UNUSED_PAD src0_sel:WORD_1 src1_sel:DWORD
	s_waitcnt lgkmcnt(2)
	v_lshrrev_b32_e32 v89, 16, v52
	v_add_u32_e32 v39, 0xe00, v54
	v_fma_f16 v86, v2, v51, v86
	v_mul_f16_sdwa v51, v2, v51 dst_sel:DWORD dst_unused:UNUSED_PAD src0_sel:WORD_1 src1_sel:DWORD
	ds_read2_b32 v[76:77], v39 offset1:224
	v_fma_f16 v51, v2, v88, -v51
	v_mul_f16_sdwa v88, v3, v89 dst_sel:DWORD dst_unused:UNUSED_PAD src0_sel:WORD_1 src1_sel:DWORD
	s_waitcnt lgkmcnt(2)
	v_lshrrev_b32_e32 v90, 16, v73
	v_fma_f16 v88, v3, v52, v88
	v_mul_f16_sdwa v52, v3, v52 dst_sel:DWORD dst_unused:UNUSED_PAD src0_sel:WORD_1 src1_sel:DWORD
	v_fma_f16 v52, v3, v89, -v52
	v_mul_f16_sdwa v89, v18, v90 dst_sel:DWORD dst_unused:UNUSED_PAD src0_sel:WORD_1 src1_sel:DWORD
	s_waitcnt lgkmcnt(1)
	v_lshrrev_b32_e32 v91, 16, v74
	v_add_u32_e32 v40, 0x2300, v54
	v_fma_f16 v89, v18, v73, v89
	v_mul_f16_sdwa v73, v18, v73 dst_sel:DWORD dst_unused:UNUSED_PAD src0_sel:WORD_1 src1_sel:DWORD
	ds_read2_b32 v[78:79], v40 offset1:224
	v_fma_f16 v73, v18, v90, -v73
	v_mul_f16_sdwa v90, v19, v91 dst_sel:DWORD dst_unused:UNUSED_PAD src0_sel:WORD_1 src1_sel:DWORD
	s_waitcnt lgkmcnt(1)
	v_lshrrev_b32_e32 v92, 16, v76
	v_fma_f16 v90, v19, v74, v90
	v_mul_f16_sdwa v74, v19, v74 dst_sel:DWORD dst_unused:UNUSED_PAD src0_sel:WORD_1 src1_sel:DWORD
	v_fma_f16 v74, v19, v91, -v74
	v_mul_f16_sdwa v91, v0, v92 dst_sel:DWORD dst_unused:UNUSED_PAD src0_sel:WORD_1 src1_sel:DWORD
	v_add_u32_e32 v41, 0x3800, v54
	v_lshrrev_b32_e32 v93, 16, v49
	v_fma_f16 v91, v0, v76, v91
	v_mul_f16_sdwa v76, v0, v76 dst_sel:DWORD dst_unused:UNUSED_PAD src0_sel:WORD_1 src1_sel:DWORD
	ds_read2_b32 v[84:85], v41 offset1:224
	v_fma_f16 v76, v0, v92, -v76
	v_mul_f16_sdwa v92, v1, v93 dst_sel:DWORD dst_unused:UNUSED_PAD src0_sel:WORD_1 src1_sel:DWORD
	s_waitcnt lgkmcnt(1)
	v_lshrrev_b32_e32 v94, 16, v78
	v_fma_f16 v92, v1, v49, v92
	v_mul_f16_sdwa v49, v1, v49 dst_sel:DWORD dst_unused:UNUSED_PAD src0_sel:WORD_1 src1_sel:DWORD
	v_fma_f16 v49, v1, v93, -v49
	v_mul_f16_sdwa v93, v2, v94 dst_sel:DWORD dst_unused:UNUSED_PAD src0_sel:WORD_1 src1_sel:DWORD
	v_lshrrev_b32_e32 v95, 16, v53
	v_fma_f16 v93, v2, v78, v93
	v_mul_f16_sdwa v78, v2, v78 dst_sel:DWORD dst_unused:UNUSED_PAD src0_sel:WORD_1 src1_sel:DWORD
	v_fma_f16 v78, v2, v94, -v78
	v_mul_f16_sdwa v94, v3, v95 dst_sel:DWORD dst_unused:UNUSED_PAD src0_sel:WORD_1 src1_sel:DWORD
	s_waitcnt lgkmcnt(0)
	v_lshrrev_b32_e32 v96, 16, v84
	v_fma_f16 v94, v3, v53, v94
	v_mul_f16_sdwa v53, v3, v53 dst_sel:DWORD dst_unused:UNUSED_PAD src0_sel:WORD_1 src1_sel:DWORD
	v_fma_f16 v53, v3, v95, -v53
	v_mul_f16_sdwa v95, v18, v96 dst_sel:DWORD dst_unused:UNUSED_PAD src0_sel:WORD_1 src1_sel:DWORD
	v_lshrrev_b32_e32 v97, 16, v75
	v_fma_f16 v95, v18, v84, v95
	v_mul_f16_sdwa v84, v18, v84 dst_sel:DWORD dst_unused:UNUSED_PAD src0_sel:WORD_1 src1_sel:DWORD
	v_fma_f16 v84, v18, v96, -v84
	v_mul_f16_sdwa v96, v19, v97 dst_sel:DWORD dst_unused:UNUSED_PAD src0_sel:WORD_1 src1_sel:DWORD
	;; [unrolled: 5-line block ×4, first 2 shown]
	v_lshrrev_b32_e32 v101, 16, v79
	v_fma_f16 v77, v1, v50, v77
	v_mul_f16_sdwa v50, v1, v50 dst_sel:DWORD dst_unused:UNUSED_PAD src0_sel:WORD_1 src1_sel:DWORD
	ds_read_b32 v99, v54 offset:17920
	v_fma_f16 v1, v1, v100, -v50
	v_mul_f16_sdwa v50, v2, v101 dst_sel:DWORD dst_unused:UNUSED_PAD src0_sel:WORD_1 src1_sel:DWORD
	v_lshrrev_b32_e32 v102, 16, v72
	v_fma_f16 v50, v2, v79, v50
	v_mul_f16_sdwa v79, v2, v79 dst_sel:DWORD dst_unused:UNUSED_PAD src0_sel:WORD_1 src1_sel:DWORD
	v_fma_f16 v2, v2, v101, -v79
	v_mul_f16_sdwa v79, v3, v102 dst_sel:DWORD dst_unused:UNUSED_PAD src0_sel:WORD_1 src1_sel:DWORD
	v_lshrrev_b32_e32 v103, 16, v85
	v_fma_f16 v79, v3, v72, v79
	v_mul_f16_sdwa v72, v3, v72 dst_sel:DWORD dst_unused:UNUSED_PAD src0_sel:WORD_1 src1_sel:DWORD
	v_fma_f16 v3, v3, v102, -v72
	v_mul_f16_sdwa v72, v18, v103 dst_sel:DWORD dst_unused:UNUSED_PAD src0_sel:WORD_1 src1_sel:DWORD
	s_waitcnt lgkmcnt(0)
	v_lshrrev_b32_e32 v104, 16, v99
	v_fma_f16 v72, v18, v85, v72
	v_mul_f16_sdwa v85, v18, v85 dst_sel:DWORD dst_unused:UNUSED_PAD src0_sel:WORD_1 src1_sel:DWORD
	v_fma_f16 v18, v18, v103, -v85
	v_mul_f16_sdwa v85, v19, v104 dst_sel:DWORD dst_unused:UNUSED_PAD src0_sel:WORD_1 src1_sel:DWORD
	v_mul_f16_sdwa v98, v19, v99 dst_sel:DWORD dst_unused:UNUSED_PAD src0_sel:WORD_1 src1_sel:DWORD
	v_fma_f16 v85, v19, v99, v85
	v_fma_f16 v19, v19, v104, -v98
	v_add_f16_e32 v98, v105, v90
	v_add_f16_e32 v99, v45, v74
	v_sub_f16_e32 v45, v45, v74
	v_add_f16_e32 v74, v80, v89
	v_add_f16_e32 v100, v48, v73
	v_sub_f16_e32 v90, v105, v90
	v_sub_f16_e32 v80, v80, v89
	;; [unrolled: 1-line block ×3, first 2 shown]
	v_add_f16_e32 v73, v86, v88
	v_add_f16_e32 v89, v51, v52
	v_sub_f16_e32 v86, v88, v86
	v_sub_f16_e32 v51, v52, v51
	v_add_f16_e32 v52, v74, v98
	v_add_f16_e32 v88, v100, v99
	v_sub_f16_e32 v101, v74, v98
	v_sub_f16_e32 v102, v100, v99
	;; [unrolled: 1-line block ×6, first 2 shown]
	v_add_f16_e32 v103, v86, v80
	v_add_f16_e32 v104, v51, v48
	v_sub_f16_e32 v105, v86, v80
	v_sub_f16_e32 v106, v51, v48
	;; [unrolled: 1-line block ×4, first 2 shown]
	v_add_f16_e32 v52, v73, v52
	v_add_f16_e32 v73, v89, v88
	v_sub_f16_e32 v86, v90, v86
	v_sub_f16_e32 v51, v45, v51
	v_add_f16_e32 v88, v103, v90
	v_add_f16_e32 v45, v104, v45
	;; [unrolled: 1-line block ×3, first 2 shown]
	v_add_f16_sdwa v46, v46, v73 dst_sel:DWORD dst_unused:UNUSED_PAD src0_sel:WORD_1 src1_sel:DWORD
	v_mul_f16_e32 v90, 0x3a52, v98
	v_mul_f16_e32 v98, 0x3a52, v99
	s_movk_i32 s3, 0x2b26
	v_mul_f16_e32 v99, 0x2b26, v74
	v_mul_f16_e32 v103, 0x2b26, v100
	v_mul_f16_e32 v104, 0x3846, v105
	v_mul_f16_e32 v105, 0x3846, v106
	s_mov_b32 s2, 0xbb00
	v_mul_f16_e32 v106, 0xbb00, v80
	v_mul_f16_e32 v107, 0xbb00, v48
	s_mov_b32 s4, 0xbcab
	s_movk_i32 s5, 0x39e0
	s_mov_b32 s7, 0xb9e0
	s_mov_b32 s14, 0xb574
	s_movk_i32 s15, 0x3574
	v_fma_f16 v52, v52, s4, v89
	v_fma_f16 v73, v73, s4, v46
	;; [unrolled: 1-line block ×4, first 2 shown]
	v_fma_f16 v99, v101, s5, -v99
	v_fma_f16 v103, v102, s5, -v103
	;; [unrolled: 1-line block ×4, first 2 shown]
	v_fma_f16 v101, v86, s14, v104
	v_fma_f16 v102, v51, s14, v105
	v_fma_f16 v48, v48, s2, -v105
	v_fma_f16 v86, v86, s15, -v106
	;; [unrolled: 1-line block ×3, first 2 shown]
	s_mov_b32 s6, 0xb70e
	v_fma_f16 v80, v80, s2, -v104
	v_add_f16_e32 v74, v74, v52
	v_add_f16_e32 v100, v100, v73
	;; [unrolled: 1-line block ×6, first 2 shown]
	v_fma_f16 v90, v88, s6, v101
	v_fma_f16 v98, v45, s6, v102
	;; [unrolled: 1-line block ×6, first 2 shown]
	v_add_f16_e32 v51, v98, v74
	v_sub_f16_e32 v88, v100, v90
	v_add_f16_e32 v101, v45, v52
	v_sub_f16_e32 v102, v73, v86
	v_sub_f16_e32 v45, v52, v45
	v_add_f16_e32 v52, v86, v73
	v_sub_f16_e32 v73, v74, v98
	v_add_f16_e32 v74, v90, v100
	v_add_f16_e32 v86, v91, v96
	;; [unrolled: 1-line block ×3, first 2 shown]
	v_sub_f16_e32 v91, v91, v96
	v_sub_f16_e32 v75, v76, v75
	v_add_f16_e32 v76, v92, v95
	v_add_f16_e32 v96, v49, v84
	v_sub_f16_e32 v92, v92, v95
	v_sub_f16_e32 v49, v49, v84
	v_add_f16_e32 v84, v93, v94
	v_add_f16_e32 v95, v78, v53
	;; [unrolled: 4-line block ×3, first 2 shown]
	v_sub_f16_e32 v104, v99, v48
	v_add_f16_e32 v105, v80, v103
	v_add_f16_e32 v48, v48, v99
	v_sub_f16_e32 v80, v103, v80
	v_sub_f16_e32 v98, v76, v86
	;; [unrolled: 1-line block ×7, first 2 shown]
	v_add_f16_e32 v100, v93, v92
	v_add_f16_e32 v103, v53, v49
	v_sub_f16_e32 v106, v93, v92
	v_sub_f16_e32 v107, v53, v49
	;; [unrolled: 1-line block ×4, first 2 shown]
	v_add_f16_e32 v78, v84, v78
	v_add_f16_e32 v84, v95, v94
	v_sub_f16_e32 v93, v91, v93
	v_sub_f16_e32 v53, v75, v53
	v_add_f16_e32 v91, v100, v91
	v_add_f16_e32 v75, v103, v75
	;; [unrolled: 1-line block ×3, first 2 shown]
	v_add_f16_sdwa v47, v47, v84 dst_sel:DWORD dst_unused:UNUSED_PAD src0_sel:WORD_1 src1_sel:DWORD
	v_mul_f16_e32 v86, 0x3a52, v86
	v_mul_f16_e32 v90, 0x3a52, v90
	;; [unrolled: 1-line block ×8, first 2 shown]
	v_fma_f16 v78, v78, s4, v94
	v_fma_f16 v84, v84, s4, v47
	;; [unrolled: 1-line block ×4, first 2 shown]
	v_fma_f16 v95, v98, s5, -v95
	v_fma_f16 v100, v99, s5, -v100
	;; [unrolled: 1-line block ×4, first 2 shown]
	v_fma_f16 v98, v93, s14, v103
	v_fma_f16 v99, v53, s14, v106
	v_fma_f16 v92, v92, s2, -v103
	v_fma_f16 v93, v93, s15, -v107
	v_fma_f16 v53, v53, s15, -v108
	v_fma_f16 v49, v49, s2, -v106
	v_add_f16_e32 v76, v76, v78
	v_add_f16_e32 v96, v96, v84
	;; [unrolled: 1-line block ×6, first 2 shown]
	v_fma_f16 v86, v91, s6, v98
	v_fma_f16 v90, v75, s6, v99
	;; [unrolled: 1-line block ×6, first 2 shown]
	v_add_f16_e32 v75, v90, v76
	v_sub_f16_e32 v93, v96, v86
	v_add_f16_e32 v98, v53, v78
	v_sub_f16_e32 v99, v84, v91
	v_sub_f16_e32 v53, v78, v53
	v_add_f16_e32 v78, v91, v84
	v_sub_f16_e32 v76, v76, v90
	v_add_f16_e32 v84, v86, v96
	v_add_f16_e32 v86, v97, v85
	v_add_f16_e32 v90, v0, v19
	v_sub_f16_e32 v0, v0, v19
	v_add_f16_e32 v19, v77, v72
	v_add_f16_e32 v91, v1, v18
	v_sub_f16_e32 v85, v97, v85
	v_sub_f16_e32 v72, v77, v72
	;; [unrolled: 1-line block ×3, first 2 shown]
	v_add_f16_e32 v18, v50, v79
	v_add_f16_e32 v77, v2, v3
	v_sub_f16_e32 v50, v79, v50
	v_sub_f16_e32 v2, v3, v2
	v_add_f16_e32 v3, v19, v86
	v_add_f16_e32 v79, v91, v90
	v_sub_f16_e32 v103, v95, v49
	v_add_f16_e32 v106, v92, v100
	v_add_f16_e32 v49, v49, v95
	v_sub_f16_e32 v92, v100, v92
	v_sub_f16_e32 v95, v19, v86
	;; [unrolled: 1-line block ×7, first 2 shown]
	v_add_f16_e32 v97, v50, v72
	v_add_f16_e32 v100, v2, v1
	v_sub_f16_e32 v107, v50, v72
	v_sub_f16_e32 v108, v2, v1
	;; [unrolled: 1-line block ×4, first 2 shown]
	v_add_f16_e32 v3, v18, v3
	v_add_f16_e32 v18, v77, v79
	v_sub_f16_e32 v50, v85, v50
	v_sub_f16_e32 v2, v0, v2
	v_add_f16_e32 v77, v97, v85
	v_add_f16_e32 v0, v100, v0
	;; [unrolled: 1-line block ×3, first 2 shown]
	v_add_f16_sdwa v44, v44, v18 dst_sel:DWORD dst_unused:UNUSED_PAD src0_sel:WORD_1 src1_sel:DWORD
	v_mul_f16_e32 v85, 0x3a52, v86
	v_mul_f16_e32 v86, 0x3a52, v90
	v_mul_f16_e32 v90, 0x2b26, v19
	v_mul_f16_e32 v97, 0x2b26, v91
	v_mul_f16_e32 v100, 0x3846, v107
	v_mul_f16_e32 v107, 0x3846, v108
	v_mul_f16_e32 v108, 0xbb00, v72
	v_mul_f16_e32 v109, 0xbb00, v1
	v_fma_f16 v3, v3, s4, v79
	v_fma_f16 v18, v18, s4, v44
	;; [unrolled: 1-line block ×4, first 2 shown]
	v_fma_f16 v90, v95, s5, -v90
	v_fma_f16 v97, v96, s5, -v97
	;; [unrolled: 1-line block ×4, first 2 shown]
	v_fma_f16 v95, v50, s14, v100
	v_fma_f16 v96, v2, s14, v107
	v_fma_f16 v1, v1, s2, -v107
	v_fma_f16 v50, v50, s15, -v108
	;; [unrolled: 1-line block ×3, first 2 shown]
	v_add_f16_e32 v19, v19, v3
	v_add_f16_e32 v91, v91, v18
	v_add_f16_e32 v90, v90, v3
	v_add_f16_e32 v97, v97, v18
	v_add_f16_e32 v3, v85, v3
	v_add_f16_e32 v18, v86, v18
	v_fma_f16 v86, v0, s6, v96
	v_fma_f16 v1, v0, s6, v1
	;; [unrolled: 1-line block ×5, first 2 shown]
	v_add_f16_e32 v95, v0, v3
	v_sub_f16_e32 v96, v18, v50
	v_sub_f16_e32 v0, v3, v0
	v_add_f16_e32 v3, v50, v18
	v_pack_b32_f16 v46, v89, v46
	v_pack_b32_f16 v50, v51, v88
	s_barrier
	ds_write2_b32 v81, v46, v50 offset1:32
	v_pack_b32_f16 v46, v101, v102
	v_pack_b32_f16 v50, v104, v105
	ds_write2_b32 v81, v46, v50 offset0:64 offset1:96
	v_pack_b32_f16 v46, v48, v80
	v_pack_b32_f16 v45, v45, v52
	ds_write2_b32 v81, v46, v45 offset0:128 offset1:160
	v_pack_b32_f16 v45, v73, v74
	v_fma_f16 v72, v72, s2, -v100
	ds_write_b32 v81, v45 offset:768
	v_pack_b32_f16 v45, v94, v47
	v_pack_b32_f16 v46, v75, v93
	v_fma_f16 v72, v77, s6, v72
	ds_write2_b32 v82, v45, v46 offset1:32
	v_pack_b32_f16 v45, v98, v99
	v_pack_b32_f16 v46, v103, v106
	v_add_f16_e32 v2, v86, v19
	v_sub_f16_e32 v77, v91, v85
	v_sub_f16_e32 v100, v90, v1
	v_add_f16_e32 v107, v72, v97
	v_add_f16_e32 v1, v1, v90
	v_sub_f16_e32 v72, v97, v72
	ds_write2_b32 v82, v45, v46 offset0:64 offset1:96
	v_pack_b32_f16 v45, v49, v92
	v_pack_b32_f16 v46, v53, v78
	v_sub_f16_e32 v18, v19, v86
	v_add_f16_e32 v19, v85, v91
	ds_write2_b32 v82, v45, v46 offset0:128 offset1:160
	v_pack_b32_f16 v45, v76, v84
	v_pack_b32_f16 v44, v79, v44
	;; [unrolled: 1-line block ×5, first 2 shown]
	ds_write_b32 v82, v45 offset:768
	ds_write2_b32 v83, v44, v2 offset1:32
	v_pack_b32_f16 v2, v95, v96
	v_pack_b32_f16 v44, v100, v107
	ds_write2_b32 v83, v1, v0 offset0:128 offset1:160
	v_pack_b32_f16 v0, v18, v19
	ds_write2_b32 v83, v2, v44 offset0:64 offset1:96
	ds_write_b32 v83, v0 offset:768
	s_waitcnt lgkmcnt(0)
	s_barrier
	ds_read2_b32 v[0:1], v12 offset1:224
	ds_read2_b32 v[2:3], v42 offset1:224
	;; [unrolled: 1-line block ×5, first 2 shown]
	s_waitcnt lgkmcnt(4)
	v_lshrrev_b32_e32 v76, 16, v1
	v_mul_f16_sdwa v96, v4, v76 dst_sel:DWORD dst_unused:UNUSED_PAD src0_sel:WORD_1 src1_sel:DWORD
	s_waitcnt lgkmcnt(3)
	v_lshrrev_b32_e32 v77, 16, v2
	v_fma_f16 v96, v4, v1, v96
	v_mul_f16_sdwa v1, v4, v1 dst_sel:DWORD dst_unused:UNUSED_PAD src0_sel:WORD_1 src1_sel:DWORD
	ds_read2_b32 v[48:49], v43 offset1:224
	v_fma_f16 v1, v4, v76, -v1
	v_mul_f16_sdwa v76, v5, v77 dst_sel:DWORD dst_unused:UNUSED_PAD src0_sel:WORD_1 src1_sel:DWORD
	s_waitcnt lgkmcnt(2)
	v_lshrrev_b32_e32 v78, 16, v45
	v_fma_f16 v76, v5, v2, v76
	v_mul_f16_sdwa v2, v5, v2 dst_sel:DWORD dst_unused:UNUSED_PAD src0_sel:WORD_1 src1_sel:DWORD
	ds_read2_b32 v[50:51], v38 offset1:224
	v_fma_f16 v2, v5, v77, -v2
	;; [unrolled: 7-line block ×3, first 2 shown]
	v_mul_f16_sdwa v78, v7, v79 dst_sel:DWORD dst_unused:UNUSED_PAD src0_sel:WORD_1 src1_sel:DWORD
	s_waitcnt lgkmcnt(2)
	v_lshrrev_b32_e32 v80, 16, v49
	v_fma_f16 v78, v7, v46, v78
	v_mul_f16_sdwa v46, v7, v46 dst_sel:DWORD dst_unused:UNUSED_PAD src0_sel:WORD_1 src1_sel:DWORD
	v_fma_f16 v46, v7, v79, -v46
	v_mul_f16_sdwa v79, v20, v80 dst_sel:DWORD dst_unused:UNUSED_PAD src0_sel:WORD_1 src1_sel:DWORD
	s_waitcnt lgkmcnt(1)
	v_lshrrev_b32_e32 v81, 16, v50
	v_fma_f16 v79, v20, v49, v79
	v_mul_f16_sdwa v49, v20, v49 dst_sel:DWORD dst_unused:UNUSED_PAD src0_sel:WORD_1 src1_sel:DWORD
	ds_read2_b32 v[72:73], v40 offset1:224
	v_fma_f16 v49, v20, v80, -v49
	v_mul_f16_sdwa v80, v21, v81 dst_sel:DWORD dst_unused:UNUSED_PAD src0_sel:WORD_1 src1_sel:DWORD
	s_waitcnt lgkmcnt(1)
	v_lshrrev_b32_e32 v82, 16, v52
	v_fma_f16 v80, v21, v50, v80
	v_mul_f16_sdwa v50, v21, v50 dst_sel:DWORD dst_unused:UNUSED_PAD src0_sel:WORD_1 src1_sel:DWORD
	v_fma_f16 v50, v21, v81, -v50
	v_mul_f16_sdwa v81, v4, v82 dst_sel:DWORD dst_unused:UNUSED_PAD src0_sel:WORD_1 src1_sel:DWORD
	v_lshrrev_b32_e32 v83, 16, v3
	v_fma_f16 v81, v4, v52, v81
	v_mul_f16_sdwa v52, v4, v52 dst_sel:DWORD dst_unused:UNUSED_PAD src0_sel:WORD_1 src1_sel:DWORD
	ds_read2_b32 v[74:75], v41 offset1:224
	v_fma_f16 v4, v4, v82, -v52
	v_mul_f16_sdwa v52, v5, v83 dst_sel:DWORD dst_unused:UNUSED_PAD src0_sel:WORD_1 src1_sel:DWORD
	s_waitcnt lgkmcnt(1)
	v_lshrrev_b32_e32 v84, 16, v72
	v_fma_f16 v52, v5, v3, v52
	v_mul_f16_sdwa v3, v5, v3 dst_sel:DWORD dst_unused:UNUSED_PAD src0_sel:WORD_1 src1_sel:DWORD
	v_fma_f16 v3, v5, v83, -v3
	v_mul_f16_sdwa v5, v6, v84 dst_sel:DWORD dst_unused:UNUSED_PAD src0_sel:WORD_1 src1_sel:DWORD
	v_lshrrev_b32_e32 v85, 16, v47
	v_fma_f16 v5, v6, v72, v5
	v_mul_f16_sdwa v72, v6, v72 dst_sel:DWORD dst_unused:UNUSED_PAD src0_sel:WORD_1 src1_sel:DWORD
	v_fma_f16 v6, v6, v84, -v72
	v_mul_f16_sdwa v72, v7, v85 dst_sel:DWORD dst_unused:UNUSED_PAD src0_sel:WORD_1 src1_sel:DWORD
	s_waitcnt lgkmcnt(0)
	v_lshrrev_b32_e32 v86, 16, v74
	v_fma_f16 v72, v7, v47, v72
	v_mul_f16_sdwa v47, v7, v47 dst_sel:DWORD dst_unused:UNUSED_PAD src0_sel:WORD_1 src1_sel:DWORD
	v_fma_f16 v7, v7, v85, -v47
	v_mul_f16_sdwa v47, v20, v86 dst_sel:DWORD dst_unused:UNUSED_PAD src0_sel:WORD_1 src1_sel:DWORD
	v_lshrrev_b32_e32 v88, 16, v51
	v_fma_f16 v47, v20, v74, v47
	v_mul_f16_sdwa v74, v20, v74 dst_sel:DWORD dst_unused:UNUSED_PAD src0_sel:WORD_1 src1_sel:DWORD
	v_fma_f16 v20, v20, v86, -v74
	v_mul_f16_sdwa v74, v21, v88 dst_sel:DWORD dst_unused:UNUSED_PAD src0_sel:WORD_1 src1_sel:DWORD
	;; [unrolled: 5-line block ×4, first 2 shown]
	v_lshrrev_b32_e32 v92, 16, v73
	v_fma_f16 v53, v9, v44, v53
	v_mul_f16_sdwa v44, v9, v44 dst_sel:DWORD dst_unused:UNUSED_PAD src0_sel:WORD_1 src1_sel:DWORD
	ds_read_b32 v90, v54 offset:17920
	v_fma_f16 v9, v9, v91, -v44
	v_mul_f16_sdwa v44, v10, v92 dst_sel:DWORD dst_unused:UNUSED_PAD src0_sel:WORD_1 src1_sel:DWORD
	v_lshrrev_b32_e32 v93, 16, v48
	v_fma_f16 v44, v10, v73, v44
	v_mul_f16_sdwa v73, v10, v73 dst_sel:DWORD dst_unused:UNUSED_PAD src0_sel:WORD_1 src1_sel:DWORD
	v_fma_f16 v10, v10, v92, -v73
	v_mul_f16_sdwa v73, v11, v93 dst_sel:DWORD dst_unused:UNUSED_PAD src0_sel:WORD_1 src1_sel:DWORD
	v_lshrrev_b32_e32 v94, 16, v75
	v_fma_f16 v73, v11, v48, v73
	v_mul_f16_sdwa v48, v11, v48 dst_sel:DWORD dst_unused:UNUSED_PAD src0_sel:WORD_1 src1_sel:DWORD
	v_fma_f16 v11, v11, v93, -v48
	v_mul_f16_sdwa v48, v22, v94 dst_sel:DWORD dst_unused:UNUSED_PAD src0_sel:WORD_1 src1_sel:DWORD
	s_waitcnt lgkmcnt(0)
	v_lshrrev_b32_e32 v95, 16, v90
	v_fma_f16 v48, v22, v75, v48
	v_mul_f16_sdwa v75, v22, v75 dst_sel:DWORD dst_unused:UNUSED_PAD src0_sel:WORD_1 src1_sel:DWORD
	v_fma_f16 v22, v22, v94, -v75
	v_mul_f16_sdwa v75, v23, v95 dst_sel:DWORD dst_unused:UNUSED_PAD src0_sel:WORD_1 src1_sel:DWORD
	v_mul_f16_sdwa v82, v23, v90 dst_sel:DWORD dst_unused:UNUSED_PAD src0_sel:WORD_1 src1_sel:DWORD
	v_fma_f16 v75, v23, v90, v75
	v_fma_f16 v23, v23, v95, -v82
	v_add_f16_e32 v82, v96, v80
	v_add_f16_e32 v83, v1, v50
	v_sub_f16_e32 v1, v1, v50
	v_add_f16_e32 v50, v76, v79
	v_add_f16_e32 v84, v2, v49
	v_sub_f16_e32 v80, v96, v80
	v_sub_f16_e32 v76, v76, v79
	;; [unrolled: 1-line block ×3, first 2 shown]
	v_add_f16_e32 v49, v77, v78
	v_add_f16_e32 v79, v45, v46
	v_sub_f16_e32 v77, v78, v77
	v_sub_f16_e32 v45, v46, v45
	v_add_f16_e32 v46, v50, v82
	v_add_f16_e32 v78, v84, v83
	v_sub_f16_e32 v85, v50, v82
	v_sub_f16_e32 v86, v84, v83
	;; [unrolled: 1-line block ×6, first 2 shown]
	v_add_f16_e32 v88, v77, v76
	v_add_f16_e32 v89, v45, v2
	v_sub_f16_e32 v90, v77, v76
	v_sub_f16_e32 v91, v45, v2
	;; [unrolled: 1-line block ×4, first 2 shown]
	v_add_f16_e32 v46, v49, v46
	v_add_f16_e32 v49, v79, v78
	v_sub_f16_e32 v77, v80, v77
	v_sub_f16_e32 v45, v1, v45
	v_add_f16_e32 v78, v88, v80
	v_add_f16_e32 v1, v89, v1
	v_add_f16_e32 v79, v18, v46
	v_add_f16_sdwa v18, v18, v49 dst_sel:DWORD dst_unused:UNUSED_PAD src0_sel:WORD_1 src1_sel:DWORD
	v_mul_f16_e32 v80, 0x3a52, v82
	v_mul_f16_e32 v82, 0x3a52, v83
	;; [unrolled: 1-line block ×8, first 2 shown]
	v_fma_f16 v46, v46, s4, v79
	v_fma_f16 v49, v49, s4, v18
	;; [unrolled: 1-line block ×4, first 2 shown]
	v_fma_f16 v83, v85, s5, -v83
	v_fma_f16 v88, v86, s5, -v88
	;; [unrolled: 1-line block ×4, first 2 shown]
	v_fma_f16 v85, v77, s14, v89
	v_fma_f16 v86, v45, s14, v90
	v_fma_f16 v2, v2, s2, -v90
	v_fma_f16 v77, v77, s15, -v91
	;; [unrolled: 1-line block ×4, first 2 shown]
	v_add_f16_e32 v50, v50, v46
	v_add_f16_e32 v84, v84, v49
	;; [unrolled: 1-line block ×6, first 2 shown]
	v_fma_f16 v80, v78, s6, v85
	v_fma_f16 v82, v1, s6, v86
	;; [unrolled: 1-line block ×6, first 2 shown]
	v_add_f16_e32 v45, v82, v50
	v_sub_f16_e32 v78, v84, v80
	v_add_f16_e32 v85, v1, v46
	v_sub_f16_e32 v86, v49, v77
	v_sub_f16_e32 v1, v46, v1
	v_add_f16_e32 v46, v77, v49
	v_sub_f16_e32 v49, v50, v82
	v_add_f16_e32 v50, v80, v84
	v_add_f16_e32 v77, v81, v74
	;; [unrolled: 1-line block ×3, first 2 shown]
	v_sub_f16_e32 v74, v81, v74
	v_sub_f16_e32 v4, v4, v21
	v_add_f16_e32 v21, v52, v47
	v_add_f16_e32 v81, v3, v20
	v_sub_f16_e32 v47, v52, v47
	v_sub_f16_e32 v3, v3, v20
	v_add_f16_e32 v20, v5, v72
	v_add_f16_e32 v52, v6, v7
	;; [unrolled: 4-line block ×3, first 2 shown]
	v_sub_f16_e32 v89, v83, v2
	v_add_f16_e32 v90, v76, v88
	v_add_f16_e32 v2, v2, v83
	v_sub_f16_e32 v76, v88, v76
	v_sub_f16_e32 v82, v21, v77
	;; [unrolled: 1-line block ×7, first 2 shown]
	v_add_f16_e32 v84, v5, v47
	v_add_f16_e32 v88, v6, v3
	v_sub_f16_e32 v91, v5, v47
	v_sub_f16_e32 v92, v6, v3
	;; [unrolled: 1-line block ×4, first 2 shown]
	v_add_f16_e32 v7, v20, v7
	v_add_f16_e32 v20, v52, v72
	v_sub_f16_e32 v5, v74, v5
	v_sub_f16_e32 v6, v4, v6
	v_add_f16_e32 v52, v84, v74
	v_add_f16_e32 v4, v88, v4
	;; [unrolled: 1-line block ×3, first 2 shown]
	v_add_f16_sdwa v19, v19, v20 dst_sel:DWORD dst_unused:UNUSED_PAD src0_sel:WORD_1 src1_sel:DWORD
	v_mul_f16_e32 v74, 0x3a52, v77
	v_mul_f16_e32 v77, 0x3a52, v80
	;; [unrolled: 1-line block ×8, first 2 shown]
	v_fma_f16 v7, v7, s4, v72
	v_fma_f16 v20, v20, s4, v19
	;; [unrolled: 1-line block ×4, first 2 shown]
	v_fma_f16 v80, v82, s5, -v80
	v_fma_f16 v84, v83, s5, -v84
	;; [unrolled: 1-line block ×4, first 2 shown]
	v_fma_f16 v82, v5, s14, v88
	v_fma_f16 v83, v6, s14, v91
	v_fma_f16 v3, v3, s2, -v91
	v_fma_f16 v5, v5, s15, -v92
	;; [unrolled: 1-line block ×4, first 2 shown]
	v_add_f16_e32 v21, v21, v7
	v_add_f16_e32 v81, v81, v20
	;; [unrolled: 1-line block ×6, first 2 shown]
	v_fma_f16 v74, v52, s6, v82
	v_fma_f16 v77, v4, s6, v83
	;; [unrolled: 1-line block ×6, first 2 shown]
	v_add_f16_e32 v6, v77, v21
	v_sub_f16_e32 v52, v81, v74
	v_add_f16_e32 v82, v4, v7
	v_sub_f16_e32 v83, v20, v5
	v_sub_f16_e32 v4, v7, v4
	v_add_f16_e32 v5, v5, v20
	v_sub_f16_e32 v7, v21, v77
	v_add_f16_e32 v20, v74, v81
	v_add_f16_e32 v21, v51, v75
	;; [unrolled: 1-line block ×3, first 2 shown]
	v_sub_f16_e32 v51, v51, v75
	v_sub_f16_e32 v8, v8, v23
	v_add_f16_e32 v23, v53, v48
	v_add_f16_e32 v75, v9, v22
	v_sub_f16_e32 v48, v53, v48
	v_sub_f16_e32 v9, v9, v22
	v_add_f16_e32 v22, v44, v73
	v_add_f16_e32 v53, v10, v11
	;; [unrolled: 4-line block ×3, first 2 shown]
	v_sub_f16_e32 v88, v80, v3
	v_add_f16_e32 v91, v47, v84
	v_add_f16_e32 v3, v3, v80
	v_sub_f16_e32 v47, v84, v47
	v_sub_f16_e32 v77, v23, v21
	;; [unrolled: 1-line block ×7, first 2 shown]
	v_add_f16_e32 v81, v44, v48
	v_add_f16_e32 v84, v10, v9
	v_sub_f16_e32 v92, v44, v48
	v_sub_f16_e32 v93, v10, v9
	;; [unrolled: 1-line block ×4, first 2 shown]
	v_add_f16_e32 v11, v22, v11
	v_add_f16_e32 v22, v53, v73
	v_sub_f16_e32 v44, v51, v44
	v_sub_f16_e32 v10, v8, v10
	v_add_f16_e32 v51, v81, v51
	v_add_f16_e32 v8, v84, v8
	;; [unrolled: 1-line block ×3, first 2 shown]
	v_add_f16_sdwa v0, v0, v22 dst_sel:DWORD dst_unused:UNUSED_PAD src0_sel:WORD_1 src1_sel:DWORD
	v_mul_f16_e32 v21, 0x3a52, v21
	v_mul_f16_e32 v73, 0x3a52, v74
	;; [unrolled: 1-line block ×8, first 2 shown]
	v_fma_f16 v11, v11, s4, v53
	v_fma_f16 v22, v22, s4, v0
	;; [unrolled: 1-line block ×4, first 2 shown]
	v_fma_f16 v74, v77, s5, -v74
	v_fma_f16 v81, v80, s5, -v81
	;; [unrolled: 1-line block ×4, first 2 shown]
	v_fma_f16 v77, v44, s14, v84
	v_fma_f16 v80, v10, s14, v92
	v_fma_f16 v9, v9, s2, -v92
	v_fma_f16 v44, v44, s15, -v93
	;; [unrolled: 1-line block ×3, first 2 shown]
	v_add_f16_e32 v23, v23, v11
	v_add_f16_e32 v74, v74, v11
	;; [unrolled: 1-line block ×4, first 2 shown]
	v_fma_f16 v73, v8, s6, v80
	v_fma_f16 v9, v8, s6, v9
	v_fma_f16 v44, v51, s6, v44
	v_fma_f16 v8, v8, s6, v10
	v_add_f16_e32 v75, v75, v22
	v_add_f16_e32 v81, v81, v22
	v_fma_f16 v22, v51, s6, v77
	v_add_f16_e32 v10, v73, v23
	v_add_f16_e32 v77, v8, v11
	v_sub_f16_e32 v80, v21, v44
	v_sub_f16_e32 v8, v11, v8
	v_add_f16_e32 v11, v44, v21
	v_sub_f16_e32 v21, v23, v73
	v_pack_b32_f16 v18, v79, v18
	v_pack_b32_f16 v23, v45, v78
	v_pack_b32_f16 v2, v2, v76
	v_pack_b32_f16 v1, v1, v46
	s_barrier
	ds_write2_b32 v54, v18, v23 offset1:224
	ds_write2_b32 v39, v2, v1 offset1:224
	v_pack_b32_f16 v1, v49, v50
	v_pack_b32_f16 v2, v72, v19
	;; [unrolled: 1-line block ×4, first 2 shown]
	ds_write2_b32 v42, v1, v2 offset1:224
	v_pack_b32_f16 v1, v6, v52
	v_pack_b32_f16 v2, v82, v83
	v_fma_f16 v48, v48, s2, -v84
	ds_write2_b32 v12, v18, v23 offset1:224
	ds_write2_b32 v14, v1, v2 offset1:224
	v_pack_b32_f16 v1, v88, v91
	v_pack_b32_f16 v2, v3, v47
	v_fma_f16 v48, v51, s6, v48
	v_sub_f16_e32 v51, v75, v22
	ds_write2_b32 v40, v1, v2 offset1:224
	v_pack_b32_f16 v1, v4, v5
	v_pack_b32_f16 v2, v7, v20
	v_sub_f16_e32 v84, v74, v9
	v_add_f16_e32 v92, v48, v81
	ds_write2_b32 v13, v1, v2 offset1:224
	v_pack_b32_f16 v0, v53, v0
	v_pack_b32_f16 v1, v10, v51
	v_add_u32_e32 v2, 0x3100, v87
	v_add_f16_e32 v9, v9, v74
	v_sub_f16_e32 v48, v81, v48
	ds_write2_b32 v2, v0, v1 offset1:224
	v_pack_b32_f16 v0, v77, v80
	v_pack_b32_f16 v1, v84, v92
	v_add_u32_e32 v2, 0x3800, v87
	v_add_f16_e32 v22, v22, v75
	ds_write2_b32 v2, v0, v1 offset1:224
	v_pack_b32_f16 v0, v9, v48
	v_pack_b32_f16 v1, v8, v11
	v_add_u32_e32 v2, 0x3f00, v87
	ds_write2_b32 v2, v0, v1 offset1:224
	v_pack_b32_f16 v0, v21, v22
	ds_write_b32 v87, v0 offset:17920
	s_waitcnt lgkmcnt(0)
	s_barrier
	ds_read2_b32 v[0:1], v54 offset1:224
	ds_read2_b32 v[2:3], v42 offset1:224
	;; [unrolled: 1-line block ×6, first 2 shown]
	s_waitcnt lgkmcnt(4)
	v_lshrrev_b32_e32 v45, 16, v3
	v_mul_f16_sdwa v84, v26, v45 dst_sel:DWORD dst_unused:UNUSED_PAD src0_sel:WORD_1 src1_sel:DWORD
	s_waitcnt lgkmcnt(3)
	v_lshrrev_b32_e32 v46, 16, v4
	v_fma_f16 v84, v26, v3, v84
	v_mul_f16_sdwa v3, v26, v3 dst_sel:DWORD dst_unused:UNUSED_PAD src0_sel:WORD_1 src1_sel:DWORD
	v_fma_f16 v3, v26, v45, -v3
	v_mul_f16_sdwa v26, v27, v46 dst_sel:DWORD dst_unused:UNUSED_PAD src0_sel:WORD_1 src1_sel:DWORD
	s_waitcnt lgkmcnt(2)
	v_lshrrev_b32_e32 v48, 16, v6
	v_fma_f16 v26, v27, v4, v26
	v_mul_f16_sdwa v4, v27, v4 dst_sel:DWORD dst_unused:UNUSED_PAD src0_sel:WORD_1 src1_sel:DWORD
	v_fma_f16 v4, v27, v46, -v4
	v_mul_f16_sdwa v27, v24, v48 dst_sel:DWORD dst_unused:UNUSED_PAD src0_sel:WORD_1 src1_sel:DWORD
	v_lshrrev_b32_e32 v49, 16, v5
	v_fma_f16 v27, v24, v6, v27
	v_mul_f16_sdwa v6, v24, v6 dst_sel:DWORD dst_unused:UNUSED_PAD src0_sel:WORD_1 src1_sel:DWORD
	v_fma_f16 v6, v24, v48, -v6
	v_mul_f16_sdwa v24, v25, v49 dst_sel:DWORD dst_unused:UNUSED_PAD src0_sel:WORD_1 src1_sel:DWORD
	;; [unrolled: 5-line block ×3, first 2 shown]
	s_waitcnt lgkmcnt(1)
	v_lshrrev_b32_e32 v52, 16, v10
	v_fma_f16 v25, v30, v7, v25
	v_mul_f16_sdwa v7, v30, v7 dst_sel:DWORD dst_unused:UNUSED_PAD src0_sel:WORD_1 src1_sel:DWORD
	v_fma_f16 v7, v30, v51, -v7
	v_mul_f16_sdwa v30, v31, v52 dst_sel:DWORD dst_unused:UNUSED_PAD src0_sel:WORD_1 src1_sel:DWORD
	s_waitcnt lgkmcnt(0)
	v_lshrrev_b32_e32 v72, 16, v18
	v_fma_f16 v30, v31, v10, v30
	v_mul_f16_sdwa v10, v31, v10 dst_sel:DWORD dst_unused:UNUSED_PAD src0_sel:WORD_1 src1_sel:DWORD
	ds_read2_b32 v[22:23], v38 offset1:224
	v_fma_f16 v10, v31, v52, -v10
	v_mul_f16_sdwa v31, v28, v72 dst_sel:DWORD dst_unused:UNUSED_PAD src0_sel:WORD_1 src1_sel:DWORD
	v_lshrrev_b32_e32 v73, 16, v11
	v_fma_f16 v31, v28, v18, v31
	v_mul_f16_sdwa v18, v28, v18 dst_sel:DWORD dst_unused:UNUSED_PAD src0_sel:WORD_1 src1_sel:DWORD
	ds_read2_b32 v[42:43], v13 offset1:224
	v_fma_f16 v18, v28, v72, -v18
	v_mul_f16_sdwa v28, v29, v73 dst_sel:DWORD dst_unused:UNUSED_PAD src0_sel:WORD_1 src1_sel:DWORD
	v_lshrrev_b32_e32 v75, 16, v19
	v_fma_f16 v28, v29, v11, v28
	v_mul_f16_sdwa v11, v29, v11 dst_sel:DWORD dst_unused:UNUSED_PAD src0_sel:WORD_1 src1_sel:DWORD
	v_fma_f16 v11, v29, v73, -v11
	v_mul_f16_sdwa v29, v32, v75 dst_sel:DWORD dst_unused:UNUSED_PAD src0_sel:WORD_1 src1_sel:DWORD
	s_waitcnt lgkmcnt(1)
	v_lshrrev_b32_e32 v76, 16, v22
	v_fma_f16 v29, v32, v19, v29
	v_mul_f16_sdwa v19, v32, v19 dst_sel:DWORD dst_unused:UNUSED_PAD src0_sel:WORD_1 src1_sel:DWORD
	v_fma_f16 v19, v32, v75, -v19
	v_mul_f16_sdwa v32, v33, v76 dst_sel:DWORD dst_unused:UNUSED_PAD src0_sel:WORD_1 src1_sel:DWORD
	s_waitcnt lgkmcnt(0)
	v_lshrrev_b32_e32 v79, 16, v42
	v_fma_f16 v32, v33, v22, v32
	v_mul_f16_sdwa v22, v33, v22 dst_sel:DWORD dst_unused:UNUSED_PAD src0_sel:WORD_1 src1_sel:DWORD
	ds_read_b32 v78, v54 offset:17920
	v_fma_f16 v22, v33, v76, -v22
	v_mul_f16_sdwa v33, v34, v79 dst_sel:DWORD dst_unused:UNUSED_PAD src0_sel:WORD_1 src1_sel:DWORD
	v_lshrrev_b32_e32 v80, 16, v23
	v_fma_f16 v33, v34, v42, v33
	v_mul_f16_sdwa v42, v34, v42 dst_sel:DWORD dst_unused:UNUSED_PAD src0_sel:WORD_1 src1_sel:DWORD
	v_fma_f16 v34, v34, v79, -v42
	v_mul_f16_sdwa v42, v35, v80 dst_sel:DWORD dst_unused:UNUSED_PAD src0_sel:WORD_1 src1_sel:DWORD
	v_lshrrev_b32_e32 v82, 16, v43
	v_fma_f16 v42, v35, v23, v42
	v_mul_f16_sdwa v23, v35, v23 dst_sel:DWORD dst_unused:UNUSED_PAD src0_sel:WORD_1 src1_sel:DWORD
	v_fma_f16 v23, v35, v80, -v23
	v_mul_f16_sdwa v35, v36, v82 dst_sel:DWORD dst_unused:UNUSED_PAD src0_sel:WORD_1 src1_sel:DWORD
	s_waitcnt lgkmcnt(0)
	v_lshrrev_b32_e32 v83, 16, v78
	v_fma_f16 v35, v36, v43, v35
	v_mul_f16_sdwa v43, v36, v43 dst_sel:DWORD dst_unused:UNUSED_PAD src0_sel:WORD_1 src1_sel:DWORD
	v_fma_f16 v36, v36, v82, -v43
	v_mul_f16_sdwa v43, v37, v83 dst_sel:DWORD dst_unused:UNUSED_PAD src0_sel:WORD_1 src1_sel:DWORD
	v_mul_f16_sdwa v45, v37, v78 dst_sel:DWORD dst_unused:UNUSED_PAD src0_sel:WORD_1 src1_sel:DWORD
	v_add_f16_e32 v46, v84, v26
	v_lshrrev_b32_e32 v44, 16, v0
	v_fma_f16 v43, v37, v78, v43
	v_fma_f16 v37, v37, v83, -v45
	v_add_f16_e32 v45, v0, v84
	v_fma_f16 v0, v46, -0.5, v0
	v_sub_f16_e32 v46, v3, v4
	s_mov_b32 s2, 0xbaee
	s_movk_i32 s3, 0x3aee
	v_fma_f16 v48, v46, s2, v0
	v_fma_f16 v0, v46, s3, v0
	v_add_f16_e32 v46, v44, v3
	v_add_f16_e32 v3, v3, v4
	ds_read2_b32 v[8:9], v12 offset1:224
	v_add_f16_e32 v46, v46, v4
	v_fma_f16 v3, v3, -0.5, v44
	v_sub_f16_e32 v4, v84, v26
	v_add_f16_e32 v44, v27, v24
	v_lshrrev_b32_e32 v47, 16, v1
	v_add_f16_e32 v45, v45, v26
	v_fma_f16 v26, v4, s3, v3
	v_fma_f16 v3, v4, s2, v3
	v_add_f16_e32 v4, v1, v27
	v_fma_f16 v1, v44, -0.5, v1
	v_sub_f16_e32 v44, v6, v5
	v_fma_f16 v49, v44, s2, v1
	v_fma_f16 v1, v44, s3, v1
	v_add_f16_e32 v44, v47, v6
	v_add_f16_e32 v44, v44, v5
	;; [unrolled: 1-line block ×3, first 2 shown]
	v_fma_f16 v5, v5, -0.5, v47
	v_sub_f16_e32 v6, v27, v24
	v_add_f16_e32 v27, v25, v30
	s_waitcnt lgkmcnt(0)
	v_lshrrev_b32_e32 v50, 16, v8
	v_add_f16_e32 v4, v4, v24
	v_fma_f16 v24, v6, s3, v5
	v_fma_f16 v5, v6, s2, v5
	v_add_f16_e32 v6, v8, v25
	v_fma_f16 v8, v27, -0.5, v8
	v_sub_f16_e32 v27, v7, v10
	v_fma_f16 v47, v27, s2, v8
	v_fma_f16 v8, v27, s3, v8
	v_add_f16_e32 v27, v50, v7
	v_add_f16_e32 v7, v7, v10
	ds_read2_b32 v[20:21], v39 offset1:224
	v_add_f16_e32 v6, v6, v30
	v_add_f16_e32 v27, v27, v10
	v_fma_f16 v7, v7, -0.5, v50
	v_sub_f16_e32 v10, v25, v30
	v_add_f16_e32 v30, v31, v28
	v_lshrrev_b32_e32 v53, 16, v9
	v_fma_f16 v25, v10, s3, v7
	v_fma_f16 v7, v10, s2, v7
	v_add_f16_e32 v10, v9, v31
	v_fma_f16 v9, v30, -0.5, v9
	v_sub_f16_e32 v30, v18, v11
	v_fma_f16 v50, v30, s2, v9
	v_fma_f16 v9, v30, s3, v9
	v_add_f16_e32 v30, v53, v18
	v_add_f16_e32 v30, v30, v11
	;; [unrolled: 1-line block ×3, first 2 shown]
	v_fma_f16 v11, v11, -0.5, v53
	v_sub_f16_e32 v18, v31, v28
	v_add_f16_e32 v31, v29, v32
	s_waitcnt lgkmcnt(0)
	v_lshrrev_b32_e32 v74, 16, v20
	v_add_f16_e32 v10, v10, v28
	v_fma_f16 v28, v18, s3, v11
	v_fma_f16 v11, v18, s2, v11
	v_add_f16_e32 v18, v20, v29
	v_fma_f16 v20, v31, -0.5, v20
	v_sub_f16_e32 v31, v19, v22
	v_fma_f16 v51, v31, s2, v20
	v_fma_f16 v20, v31, s3, v20
	v_add_f16_e32 v31, v74, v19
	v_add_f16_e32 v19, v19, v22
	;; [unrolled: 1-line block ×4, first 2 shown]
	v_fma_f16 v19, v19, -0.5, v74
	v_sub_f16_e32 v22, v29, v32
	v_add_f16_e32 v32, v33, v42
	v_lshrrev_b32_e32 v77, 16, v21
	v_fma_f16 v29, v22, s3, v19
	v_fma_f16 v19, v22, s2, v19
	v_add_f16_e32 v22, v21, v33
	v_fma_f16 v21, v32, -0.5, v21
	v_sub_f16_e32 v32, v34, v23
	v_fma_f16 v52, v32, s2, v21
	v_fma_f16 v21, v32, s3, v21
	v_add_f16_e32 v32, v77, v34
	v_add_f16_e32 v32, v32, v23
	;; [unrolled: 1-line block ×4, first 2 shown]
	v_fma_f16 v23, v23, -0.5, v77
	v_sub_f16_e32 v33, v33, v42
	v_add_f16_e32 v42, v35, v43
	v_lshrrev_b32_e32 v81, 16, v2
	v_fma_f16 v34, v33, s3, v23
	v_fma_f16 v23, v33, s2, v23
	v_add_f16_e32 v33, v2, v35
	v_fma_f16 v2, v42, -0.5, v2
	v_sub_f16_e32 v42, v36, v37
	v_fma_f16 v53, v42, s2, v2
	v_fma_f16 v2, v42, s3, v2
	v_add_f16_e32 v42, v81, v36
	v_add_f16_e32 v36, v36, v37
	v_fma_f16 v36, v36, -0.5, v81
	v_sub_f16_e32 v35, v35, v43
	v_pack_b32_f16 v0, v0, v3
	v_add_f16_e32 v42, v42, v37
	v_fma_f16 v37, v35, s3, v36
	v_fma_f16 v35, v35, s2, v36
	v_pack_b32_f16 v36, v45, v46
	v_pack_b32_f16 v26, v48, v26
	ds_write_b32 v54, v0 offset:12544
	v_pack_b32_f16 v0, v4, v44
	ds_write_b32 v54, v26 offset:6272
	ds_write2_b32 v54, v36, v0 offset1:224
	v_pack_b32_f16 v0, v49, v24
	v_pack_b32_f16 v1, v1, v5
	;; [unrolled: 1-line block ×3, first 2 shown]
	ds_write_b32 v54, v1 offset:13440
	v_pack_b32_f16 v1, v6, v27
	ds_write2_b32 v14, v0, v3 offset1:224
	v_pack_b32_f16 v3, v10, v30
	v_pack_b32_f16 v0, v8, v7
	ds_write2_b32 v12, v1, v3 offset1:224
	v_pack_b32_f16 v3, v9, v11
	;; [unrolled: 3-line block ×4, first 2 shown]
	v_add_f16_e32 v33, v33, v43
	v_pack_b32_f16 v1, v20, v19
	ds_write2_b32 v39, v0, v3 offset1:224
	v_pack_b32_f16 v3, v21, v23
	ds_write2_b32 v38, v1, v3 offset1:224
	v_pack_b32_f16 v1, v33, v42
	v_pack_b32_f16 v0, v52, v34
	ds_write_b32 v54, v1 offset:5376
	v_pack_b32_f16 v1, v53, v37
	ds_write2_b32 v13, v0, v1 offset1:224
	v_pack_b32_f16 v0, v2, v35
	ds_write_b32 v54, v0 offset:17920
	s_waitcnt lgkmcnt(0)
	s_barrier
	ds_read2_b32 v[0:1], v54 offset1:224
	s_mov_b32 s6, 0x899406f7
	s_mov_b32 s7, 0x3f2bdd2b
	v_mad_u64_u32 v[4:5], s[2:3], s10, v17, 0
	s_waitcnt lgkmcnt(0)
	v_lshrrev_b32_e32 v7, 16, v0
	v_mul_f16_sdwa v2, v71, v7 dst_sel:DWORD dst_unused:UNUSED_PAD src0_sel:WORD_1 src1_sel:DWORD
	v_fma_f16 v2, v71, v0, v2
	v_cvt_f32_f16_e32 v2, v2
	s_movk_i32 s17, 0x1ff
	v_mad_u64_u32 v[5:6], s[2:3], s11, v17, v[5:6]
	v_cvt_f64_f32_e32 v[2:3], v2
	s_movk_i32 s14, 0xffe
	v_mul_f16_sdwa v0, v71, v0 dst_sel:DWORD dst_unused:UNUSED_PAD src0_sel:WORD_1 src1_sel:DWORD
	v_fma_f16 v0, v71, v7, -v0
	v_mul_f64 v[2:3], v[2:3], s[6:7]
	v_cvt_f32_f16_e32 v0, v0
	v_mov_b32_e32 v14, 0x7c00
	s_movk_i32 s15, 0x40f
	s_mov_b32 s16, 0x8000
	v_lshlrev_b64 v[4:5], 2, v[4:5]
	s_movk_i32 s18, 0x1000
	v_and_or_b32 v2, v3, s17, v2
	v_cmp_ne_u32_e32 vcc, 0, v2
	v_cndmask_b32_e64 v2, 0, 1, vcc
	v_lshrrev_b32_e32 v6, 8, v3
	v_bfe_u32 v8, v3, 20, 11
	v_and_or_b32 v2, v6, s14, v2
	v_sub_u32_e32 v9, 0x3f1, v8
	v_or_b32_e32 v6, 0x1000, v2
	v_med3_i32 v9, v9, 0, 13
	v_lshrrev_b32_e32 v10, v9, v6
	v_lshlrev_b32_e32 v9, v9, v10
	v_cmp_ne_u32_e32 vcc, v9, v6
	v_cndmask_b32_e64 v6, 0, 1, vcc
	v_add_u32_e32 v8, 0xfffffc10, v8
	v_or_b32_e32 v6, v10, v6
	v_lshl_or_b32 v9, v8, 12, v2
	v_cmp_gt_i32_e32 vcc, 1, v8
	v_cndmask_b32_e32 v6, v9, v6, vcc
	v_and_b32_e32 v9, 7, v6
	v_cmp_lt_i32_e32 vcc, 5, v9
	v_cmp_eq_u32_e64 s[2:3], 3, v9
	v_lshrrev_b32_e32 v6, 2, v6
	s_or_b64 vcc, s[2:3], vcc
	v_addc_co_u32_e32 v9, vcc, 0, v6, vcc
	v_cvt_f64_f32_e32 v[6:7], v0
	v_cmp_gt_i32_e32 vcc, 31, v8
	v_cndmask_b32_e32 v0, v14, v9, vcc
	v_cmp_ne_u32_e32 vcc, 0, v2
	v_mul_f64 v[6:7], v[6:7], s[6:7]
	v_cndmask_b32_e64 v2, 0, 1, vcc
	v_lshl_or_b32 v2, v2, 9, v14
	v_cmp_eq_u32_e32 vcc, s15, v8
	v_cndmask_b32_e32 v0, v0, v2, vcc
	v_lshrrev_b32_e32 v2, 16, v3
	v_and_or_b32 v10, v2, s16, v0
	v_and_b32_e32 v10, 0xffff, v10
	v_and_or_b32 v0, v7, s17, v6
	v_cmp_ne_u32_e32 vcc, 0, v0
	v_cndmask_b32_e64 v0, 0, 1, vcc
	v_lshrrev_b32_e32 v2, 8, v7
	v_bfe_u32 v3, v7, 20, 11
	v_and_or_b32 v0, v2, s14, v0
	v_sub_u32_e32 v6, 0x3f1, v3
	v_or_b32_e32 v2, 0x1000, v0
	v_med3_i32 v6, v6, 0, 13
	v_lshrrev_b32_e32 v8, v6, v2
	v_lshlrev_b32_e32 v6, v6, v8
	v_cmp_ne_u32_e32 vcc, v6, v2
	v_cndmask_b32_e64 v2, 0, 1, vcc
	v_add_u32_e32 v3, 0xfffffc10, v3
	v_or_b32_e32 v2, v8, v2
	v_lshl_or_b32 v6, v3, 12, v0
	v_cmp_gt_i32_e32 vcc, 1, v3
	v_cndmask_b32_e32 v2, v6, v2, vcc
	v_and_b32_e32 v6, 7, v2
	v_cmp_lt_i32_e32 vcc, 5, v6
	v_cmp_eq_u32_e64 s[2:3], 3, v6
	v_lshrrev_b32_e32 v2, 2, v2
	s_or_b64 vcc, s[2:3], vcc
	v_addc_co_u32_e32 v2, vcc, 0, v2, vcc
	v_cmp_gt_i32_e32 vcc, 31, v3
	v_cndmask_b32_e32 v2, v14, v2, vcc
	v_cmp_ne_u32_e32 vcc, 0, v0
	v_cndmask_b32_e64 v0, 0, 1, vcc
	v_lshl_or_b32 v0, v0, 9, v14
	v_cmp_eq_u32_e32 vcc, s15, v3
	v_cndmask_b32_e32 v11, v2, v0, vcc
	v_add_u32_e32 v0, 0x900, v54
	v_mad_u64_u32 v[8:9], s[2:3], s8, v69, 0
	ds_read2_b32 v[2:3], v0 offset0:12 offset1:236
	v_lshrrev_b32_e32 v12, 16, v7
	v_mov_b32_e32 v0, v9
	v_mad_u64_u32 v[6:7], s[2:3], s9, v69, v[0:1]
	s_waitcnt lgkmcnt(0)
	v_lshrrev_b32_e32 v0, 16, v2
	v_mul_f16_sdwa v7, v70, v0 dst_sel:DWORD dst_unused:UNUSED_PAD src0_sel:WORD_1 src1_sel:DWORD
	v_fma_f16 v7, v70, v2, v7
	v_cvt_f32_f16_e32 v7, v7
	v_mov_b32_e32 v9, v6
	v_and_or_b32 v11, v12, s16, v11
	v_lshl_or_b32 v10, v11, 16, v10
	v_cvt_f64_f32_e32 v[6:7], v7
	v_mov_b32_e32 v11, s13
	v_add_co_u32_e32 v12, vcc, s12, v4
	v_mul_f64 v[6:7], v[6:7], s[6:7]
	v_addc_co_u32_e32 v11, vcc, v11, v5, vcc
	v_lshlrev_b64 v[4:5], 2, v[8:9]
	v_mul_f16_sdwa v2, v70, v2 dst_sel:DWORD dst_unused:UNUSED_PAD src0_sel:WORD_1 src1_sel:DWORD
	v_add_co_u32_e32 v8, vcc, v12, v4
	v_addc_co_u32_e32 v9, vcc, v11, v5, vcc
	v_and_or_b32 v4, v7, s17, v6
	v_cmp_ne_u32_e32 vcc, 0, v4
	v_cndmask_b32_e64 v4, 0, 1, vcc
	v_lshrrev_b32_e32 v5, 8, v7
	global_store_dword v[8:9], v10, off
	v_and_or_b32 v10, v5, s14, v4
	v_bfe_u32 v5, v7, 20, 11
	v_sub_u32_e32 v6, 0x3f1, v5
	v_or_b32_e32 v4, 0x1000, v10
	v_med3_i32 v6, v6, 0, 13
	v_lshrrev_b32_e32 v11, v6, v4
	v_lshlrev_b32_e32 v6, v6, v11
	v_cmp_ne_u32_e32 vcc, v6, v4
	v_cndmask_b32_e64 v4, 0, 1, vcc
	v_fma_f16 v0, v70, v0, -v2
	v_or_b32_e32 v4, v11, v4
	v_add_u32_e32 v11, 0xfffffc10, v5
	v_cvt_f32_f16_e32 v0, v0
	v_lshl_or_b32 v5, v11, 12, v10
	v_cmp_gt_i32_e32 vcc, 1, v11
	v_cndmask_b32_e32 v4, v5, v4, vcc
	v_and_b32_e32 v5, 7, v4
	v_cmp_lt_i32_e32 vcc, 5, v5
	v_cmp_eq_u32_e64 s[2:3], 3, v5
	v_lshrrev_b32_e32 v2, 2, v4
	v_cvt_f64_f32_e32 v[4:5], v0
	s_or_b64 vcc, s[2:3], vcc
	v_addc_co_u32_e32 v0, vcc, 0, v2, vcc
	v_mul_f64 v[5:6], v[4:5], s[6:7]
	v_cmp_gt_i32_e32 vcc, 31, v11
	v_cndmask_b32_e32 v0, v14, v0, vcc
	v_cmp_ne_u32_e32 vcc, 0, v10
	v_cndmask_b32_e64 v2, 0, 1, vcc
	v_lshl_or_b32 v2, v2, 9, v14
	v_cmp_eq_u32_e32 vcc, s15, v11
	v_cndmask_b32_e32 v0, v0, v2, vcc
	v_lshrrev_b32_e32 v2, 16, v7
	v_and_or_b32 v0, v2, s16, v0
	v_and_or_b32 v2, v6, s17, v5
	v_cmp_ne_u32_e32 vcc, 0, v2
	v_cndmask_b32_e64 v2, 0, 1, vcc
	v_lshrrev_b32_e32 v4, 8, v6
	v_bfe_u32 v5, v6, 20, 11
	v_and_or_b32 v2, v4, s14, v2
	v_sub_u32_e32 v7, 0x3f1, v5
	v_or_b32_e32 v4, 0x1000, v2
	v_med3_i32 v7, v7, 0, 13
	v_lshrrev_b32_e32 v10, v7, v4
	v_lshlrev_b32_e32 v7, v7, v10
	v_cmp_ne_u32_e32 vcc, v7, v4
	v_cndmask_b32_e64 v4, 0, 1, vcc
	v_add_u32_e32 v7, 0xfffffc10, v5
	v_or_b32_e32 v4, v10, v4
	v_lshl_or_b32 v5, v7, 12, v2
	v_cmp_gt_i32_e32 vcc, 1, v7
	v_cndmask_b32_e32 v4, v5, v4, vcc
	v_and_b32_e32 v5, 7, v4
	v_cmp_lt_i32_e32 vcc, 5, v5
	v_cmp_eq_u32_e64 s[2:3], 3, v5
	v_lshrrev_b32_e32 v4, 2, v4
	s_or_b64 vcc, s[2:3], vcc
	v_addc_co_u32_e32 v4, vcc, 0, v4, vcc
	v_cmp_gt_i32_e32 vcc, 31, v7
	v_cndmask_b32_e32 v10, v14, v4, vcc
	v_add_u32_e32 v4, 0x1200, v54
	ds_read2_b32 v[4:5], v4 offset0:24 offset1:248
	v_cmp_ne_u32_e32 vcc, 0, v2
	v_cndmask_b32_e64 v2, 0, 1, vcc
	v_lshl_or_b32 v2, v2, 9, v14
	v_cmp_eq_u32_e32 vcc, s15, v7
	v_cndmask_b32_e32 v2, v10, v2, vcc
	v_lshrrev_b32_e32 v6, 16, v6
	s_waitcnt lgkmcnt(0)
	v_lshrrev_b32_e32 v10, 16, v4
	v_and_or_b32 v2, v6, s16, v2
	v_mul_f16_sdwa v6, v67, v10 dst_sel:DWORD dst_unused:UNUSED_PAD src0_sel:WORD_1 src1_sel:DWORD
	v_fma_f16 v6, v67, v4, v6
	v_cvt_f32_f16_e32 v6, v6
	s_mul_i32 s2, s9, 0x24c
	s_mul_hi_u32 s3, s8, 0x24c
	s_add_i32 s3, s3, s2
	v_cvt_f64_f32_e32 v[6:7], v6
	s_mul_i32 s2, s8, 0x24c
	v_and_b32_e32 v0, 0xffff, v0
	s_lshl_b64 s[10:11], s[2:3], 2
	v_mul_f64 v[6:7], v[6:7], s[6:7]
	v_lshl_or_b32 v0, v2, 16, v0
	v_mov_b32_e32 v2, s11
	v_add_co_u32_e32 v8, vcc, s10, v8
	v_addc_co_u32_e32 v9, vcc, v9, v2, vcc
	global_store_dword v[8:9], v0, off
	v_and_or_b32 v0, v7, s17, v6
	v_cmp_ne_u32_e32 vcc, 0, v0
	v_cndmask_b32_e64 v0, 0, 1, vcc
	v_lshrrev_b32_e32 v6, 8, v7
	v_bfe_u32 v11, v7, 20, 11
	v_and_or_b32 v0, v6, s14, v0
	v_sub_u32_e32 v12, 0x3f1, v11
	v_or_b32_e32 v6, 0x1000, v0
	v_med3_i32 v12, v12, 0, 13
	v_lshrrev_b32_e32 v13, v12, v6
	v_lshlrev_b32_e32 v12, v12, v13
	v_mul_f16_sdwa v4, v67, v4 dst_sel:DWORD dst_unused:UNUSED_PAD src0_sel:WORD_1 src1_sel:DWORD
	v_cmp_ne_u32_e32 vcc, v12, v6
	v_fma_f16 v4, v67, v10, -v4
	v_cndmask_b32_e64 v6, 0, 1, vcc
	v_add_u32_e32 v12, 0xfffffc10, v11
	v_cvt_f32_f16_e32 v4, v4
	v_or_b32_e32 v6, v13, v6
	v_lshl_or_b32 v11, v12, 12, v0
	v_cmp_gt_i32_e32 vcc, 1, v12
	v_cndmask_b32_e32 v6, v11, v6, vcc
	v_and_b32_e32 v11, 7, v6
	v_cmp_lt_i32_e32 vcc, 5, v11
	v_cmp_eq_u32_e64 s[2:3], 3, v11
	v_cvt_f64_f32_e32 v[10:11], v4
	v_lshrrev_b32_e32 v6, 2, v6
	s_or_b64 vcc, s[2:3], vcc
	v_addc_co_u32_e32 v4, vcc, 0, v6, vcc
	v_mul_f64 v[10:11], v[10:11], s[6:7]
	v_cmp_gt_i32_e32 vcc, 31, v12
	v_cndmask_b32_e32 v4, v14, v4, vcc
	v_cmp_ne_u32_e32 vcc, 0, v0
	v_cndmask_b32_e64 v0, 0, 1, vcc
	v_lshl_or_b32 v0, v0, 9, v14
	v_cmp_eq_u32_e32 vcc, s15, v12
	v_cndmask_b32_e32 v0, v4, v0, vcc
	v_lshrrev_b32_e32 v4, 16, v7
	v_and_or_b32 v0, v4, s16, v0
	v_and_or_b32 v4, v11, s17, v10
	v_cmp_ne_u32_e32 vcc, 0, v4
	v_cndmask_b32_e64 v4, 0, 1, vcc
	v_lshrrev_b32_e32 v6, 8, v11
	v_bfe_u32 v7, v11, 20, 11
	v_and_or_b32 v4, v6, s14, v4
	v_sub_u32_e32 v10, 0x3f1, v7
	v_or_b32_e32 v6, 0x1000, v4
	v_med3_i32 v10, v10, 0, 13
	v_lshrrev_b32_e32 v12, v10, v6
	v_lshlrev_b32_e32 v10, v10, v12
	v_cmp_ne_u32_e32 vcc, v10, v6
	v_cndmask_b32_e64 v6, 0, 1, vcc
	v_add_u32_e32 v10, 0xfffffc10, v7
	v_or_b32_e32 v6, v12, v6
	v_lshl_or_b32 v7, v10, 12, v4
	v_cmp_gt_i32_e32 vcc, 1, v10
	v_cndmask_b32_e32 v6, v7, v6, vcc
	v_and_b32_e32 v7, 7, v6
	v_lshrrev_b32_e32 v12, 2, v6
	v_add_u32_e32 v6, 0x1b80, v54
	v_cmp_lt_i32_e32 vcc, 5, v7
	v_cmp_eq_u32_e64 s[2:3], 3, v7
	ds_read2_b32 v[6:7], v6 offset0:4 offset1:228
	s_or_b64 vcc, s[2:3], vcc
	v_addc_co_u32_e32 v12, vcc, 0, v12, vcc
	v_cmp_gt_i32_e32 vcc, 31, v10
	s_waitcnt lgkmcnt(0)
	v_lshrrev_b32_e32 v18, 16, v6
	v_cndmask_b32_e32 v17, v14, v12, vcc
	v_mul_f16_sdwa v12, v68, v18 dst_sel:DWORD dst_unused:UNUSED_PAD src0_sel:WORD_1 src1_sel:DWORD
	v_fma_f16 v12, v68, v6, v12
	v_cvt_f32_f16_e32 v12, v12
	v_cmp_ne_u32_e32 vcc, 0, v4
	v_cndmask_b32_e64 v4, 0, 1, vcc
	v_lshl_or_b32 v4, v4, 9, v14
	v_cvt_f64_f32_e32 v[12:13], v12
	v_cmp_eq_u32_e32 vcc, s15, v10
	v_cndmask_b32_e32 v4, v17, v4, vcc
	v_lshrrev_b32_e32 v10, 16, v11
	v_and_or_b32 v4, v10, s16, v4
	v_mul_f64 v[10:11], v[12:13], s[6:7]
	v_and_b32_e32 v0, 0xffff, v0
	v_add_co_u32_e32 v12, vcc, s10, v8
	v_lshl_or_b32 v0, v4, 16, v0
	v_addc_co_u32_e32 v13, vcc, v9, v2, vcc
	global_store_dword v[12:13], v0, off
	v_and_or_b32 v0, v11, s17, v10
	v_cmp_ne_u32_e32 vcc, 0, v0
	v_cndmask_b32_e64 v0, 0, 1, vcc
	v_lshrrev_b32_e32 v4, 8, v11
	v_bfe_u32 v8, v11, 20, 11
	v_and_or_b32 v0, v4, s14, v0
	v_sub_u32_e32 v9, 0x3f1, v8
	v_or_b32_e32 v4, 0x1000, v0
	v_med3_i32 v9, v9, 0, 13
	v_lshrrev_b32_e32 v10, v9, v4
	v_lshlrev_b32_e32 v9, v9, v10
	v_mul_f16_sdwa v6, v68, v6 dst_sel:DWORD dst_unused:UNUSED_PAD src0_sel:WORD_1 src1_sel:DWORD
	v_cmp_ne_u32_e32 vcc, v9, v4
	v_fma_f16 v6, v68, v18, -v6
	v_cndmask_b32_e64 v4, 0, 1, vcc
	v_add_u32_e32 v17, 0xfffffc10, v8
	v_cvt_f32_f16_e32 v6, v6
	v_or_b32_e32 v4, v10, v4
	v_lshl_or_b32 v8, v17, 12, v0
	v_cmp_gt_i32_e32 vcc, 1, v17
	v_cndmask_b32_e32 v4, v8, v4, vcc
	v_and_b32_e32 v8, 7, v4
	v_cmp_lt_i32_e32 vcc, 5, v8
	v_cmp_eq_u32_e64 s[2:3], 3, v8
	v_cvt_f64_f32_e32 v[8:9], v6
	v_lshrrev_b32_e32 v4, 2, v4
	s_or_b64 vcc, s[2:3], vcc
	v_addc_co_u32_e32 v4, vcc, 0, v4, vcc
	v_mul_f64 v[9:10], v[8:9], s[6:7]
	v_cmp_gt_i32_e32 vcc, 31, v17
	v_cndmask_b32_e32 v4, v14, v4, vcc
	v_cmp_ne_u32_e32 vcc, 0, v0
	v_cndmask_b32_e64 v0, 0, 1, vcc
	v_lshl_or_b32 v0, v0, 9, v14
	v_cmp_eq_u32_e32 vcc, s15, v17
	v_cndmask_b32_e32 v0, v4, v0, vcc
	v_lshrrev_b32_e32 v4, 16, v11
	v_and_or_b32 v0, v4, s16, v0
	v_and_or_b32 v4, v10, s17, v9
	v_cmp_ne_u32_e32 vcc, 0, v4
	v_cndmask_b32_e64 v4, 0, 1, vcc
	v_lshrrev_b32_e32 v6, 8, v10
	v_bfe_u32 v8, v10, 20, 11
	v_and_or_b32 v4, v6, s14, v4
	v_sub_u32_e32 v9, 0x3f1, v8
	v_or_b32_e32 v6, 0x1000, v4
	v_med3_i32 v9, v9, 0, 13
	v_lshrrev_b32_e32 v11, v9, v6
	v_lshlrev_b32_e32 v9, v9, v11
	v_cmp_ne_u32_e32 vcc, v9, v6
	v_cndmask_b32_e64 v6, 0, 1, vcc
	v_or_b32_e32 v6, v11, v6
	v_add_u32_e32 v11, 0xfffffc10, v8
	v_lshl_or_b32 v8, v11, 12, v4
	v_cmp_gt_i32_e32 vcc, 1, v11
	v_cndmask_b32_e32 v6, v8, v6, vcc
	v_and_b32_e32 v8, 7, v6
	v_cmp_lt_i32_e32 vcc, 5, v8
	v_cmp_eq_u32_e64 s[2:3], 3, v8
	v_add_u32_e32 v8, 0x2480, v54
	ds_read2_b32 v[8:9], v8 offset0:16 offset1:240
	v_lshrrev_b32_e32 v6, 2, v6
	s_or_b64 vcc, s[2:3], vcc
	v_addc_co_u32_e32 v6, vcc, 0, v6, vcc
	s_waitcnt lgkmcnt(0)
	v_lshrrev_b32_e32 v19, 16, v8
	v_mul_f16_sdwa v17, v66, v19 dst_sel:DWORD dst_unused:UNUSED_PAD src0_sel:WORD_1 src1_sel:DWORD
	v_fma_f16 v17, v66, v8, v17
	v_cvt_f32_f16_e32 v17, v17
	v_cmp_gt_i32_e32 vcc, 31, v11
	v_cndmask_b32_e32 v6, v14, v6, vcc
	v_cmp_ne_u32_e32 vcc, 0, v4
	v_cvt_f64_f32_e32 v[17:18], v17
	v_cndmask_b32_e64 v4, 0, 1, vcc
	v_lshl_or_b32 v4, v4, 9, v14
	v_cmp_eq_u32_e32 vcc, s15, v11
	v_cndmask_b32_e32 v4, v6, v4, vcc
	v_lshrrev_b32_e32 v6, 16, v10
	v_mul_f64 v[10:11], v[17:18], s[6:7]
	v_and_or_b32 v4, v6, s16, v4
	v_and_b32_e32 v0, 0xffff, v0
	v_add_co_u32_e32 v12, vcc, s10, v12
	v_lshl_or_b32 v0, v4, 16, v0
	v_addc_co_u32_e32 v13, vcc, v13, v2, vcc
	global_store_dword v[12:13], v0, off
	v_and_or_b32 v0, v11, s17, v10
	v_cmp_ne_u32_e32 vcc, 0, v0
	v_cndmask_b32_e64 v0, 0, 1, vcc
	v_lshrrev_b32_e32 v4, 8, v11
	v_bfe_u32 v6, v11, 20, 11
	v_and_or_b32 v0, v4, s14, v0
	v_sub_u32_e32 v10, 0x3f1, v6
	v_mul_f16_sdwa v8, v66, v8 dst_sel:DWORD dst_unused:UNUSED_PAD src0_sel:WORD_1 src1_sel:DWORD
	v_or_b32_e32 v4, 0x1000, v0
	v_med3_i32 v10, v10, 0, 13
	v_fma_f16 v8, v66, v19, -v8
	v_lshrrev_b32_e32 v17, v10, v4
	v_cvt_f32_f16_e32 v8, v8
	v_lshlrev_b32_e32 v10, v10, v17
	v_cmp_ne_u32_e32 vcc, v10, v4
	v_cndmask_b32_e64 v4, 0, 1, vcc
	v_or_b32_e32 v4, v17, v4
	v_add_u32_e32 v6, 0xfffffc10, v6
	v_cvt_f64_f32_e32 v[17:18], v8
	v_lshl_or_b32 v10, v6, 12, v0
	v_cmp_gt_i32_e32 vcc, 1, v6
	v_cndmask_b32_e32 v4, v10, v4, vcc
	v_and_b32_e32 v10, 7, v4
	v_cmp_lt_i32_e32 vcc, 5, v10
	v_cmp_eq_u32_e64 s[2:3], 3, v10
	v_mul_f64 v[17:18], v[17:18], s[6:7]
	v_lshrrev_b32_e32 v4, 2, v4
	s_or_b64 vcc, s[2:3], vcc
	v_addc_co_u32_e32 v4, vcc, 0, v4, vcc
	v_cmp_gt_i32_e32 vcc, 31, v6
	v_cndmask_b32_e32 v4, v14, v4, vcc
	v_cmp_ne_u32_e32 vcc, 0, v0
	v_cndmask_b32_e64 v0, 0, 1, vcc
	v_lshl_or_b32 v0, v0, 9, v14
	v_cmp_eq_u32_e32 vcc, s15, v6
	v_cndmask_b32_e32 v0, v4, v0, vcc
	v_lshrrev_b32_e32 v4, 16, v11
	v_and_or_b32 v0, v4, s16, v0
	v_and_or_b32 v4, v18, s17, v17
	v_cmp_ne_u32_e32 vcc, 0, v4
	v_cndmask_b32_e64 v4, 0, 1, vcc
	v_lshrrev_b32_e32 v6, 8, v18
	v_bfe_u32 v8, v18, 20, 11
	v_and_or_b32 v4, v6, s14, v4
	v_sub_u32_e32 v10, 0x3f1, v8
	v_or_b32_e32 v6, 0x1000, v4
	v_med3_i32 v10, v10, 0, 13
	v_lshrrev_b32_e32 v11, v10, v6
	v_lshlrev_b32_e32 v10, v10, v11
	v_cmp_ne_u32_e32 vcc, v10, v6
	v_cndmask_b32_e64 v6, 0, 1, vcc
	v_add_u32_e32 v8, 0xfffffc10, v8
	v_or_b32_e32 v6, v11, v6
	v_lshl_or_b32 v10, v8, 12, v4
	v_cmp_gt_i32_e32 vcc, 1, v8
	v_cndmask_b32_e32 v6, v10, v6, vcc
	v_and_b32_e32 v10, 7, v6
	v_cmp_lt_i32_e32 vcc, 5, v10
	v_cmp_eq_u32_e64 s[2:3], 3, v10
	v_add_u32_e32 v10, 0x2d80, v54
	ds_read2_b32 v[10:11], v10 offset0:28 offset1:252
	v_lshrrev_b32_e32 v6, 2, v6
	s_or_b64 vcc, s[2:3], vcc
	v_addc_co_u32_e32 v6, vcc, 0, v6, vcc
	s_waitcnt lgkmcnt(0)
	v_lshrrev_b32_e32 v21, 16, v10
	v_mul_f16_sdwa v17, v65, v21 dst_sel:DWORD dst_unused:UNUSED_PAD src0_sel:WORD_1 src1_sel:DWORD
	v_fma_f16 v17, v65, v10, v17
	v_cvt_f32_f16_e32 v17, v17
	v_cmp_gt_i32_e32 vcc, 31, v8
	v_cndmask_b32_e32 v6, v14, v6, vcc
	v_cmp_ne_u32_e32 vcc, 0, v4
	v_cvt_f64_f32_e32 v[19:20], v17
	v_cndmask_b32_e64 v4, 0, 1, vcc
	v_lshl_or_b32 v4, v4, 9, v14
	v_cmp_eq_u32_e32 vcc, s15, v8
	v_cndmask_b32_e32 v4, v6, v4, vcc
	v_lshrrev_b32_e32 v6, 16, v18
	v_mul_f64 v[17:18], v[19:20], s[6:7]
	v_and_or_b32 v4, v6, s16, v4
	v_and_b32_e32 v0, 0xffff, v0
	v_add_co_u32_e32 v19, vcc, s10, v12
	v_lshl_or_b32 v0, v4, 16, v0
	v_addc_co_u32_e32 v20, vcc, v13, v2, vcc
	global_store_dword v[19:20], v0, off
	v_and_or_b32 v0, v18, s17, v17
	v_cmp_ne_u32_e32 vcc, 0, v0
	v_cndmask_b32_e64 v0, 0, 1, vcc
	v_lshrrev_b32_e32 v4, 8, v18
	v_bfe_u32 v6, v18, 20, 11
	v_and_or_b32 v0, v4, s14, v0
	v_sub_u32_e32 v8, 0x3f1, v6
	v_mul_f16_sdwa v10, v65, v10 dst_sel:DWORD dst_unused:UNUSED_PAD src0_sel:WORD_1 src1_sel:DWORD
	v_or_b32_e32 v4, 0x1000, v0
	v_med3_i32 v8, v8, 0, 13
	v_fma_f16 v10, v65, v21, -v10
	v_lshrrev_b32_e32 v12, v8, v4
	v_cvt_f32_f16_e32 v10, v10
	v_lshlrev_b32_e32 v8, v8, v12
	v_cmp_ne_u32_e32 vcc, v8, v4
	v_cndmask_b32_e64 v4, 0, 1, vcc
	v_or_b32_e32 v4, v12, v4
	v_add_u32_e32 v6, 0xfffffc10, v6
	v_cvt_f64_f32_e32 v[12:13], v10
	v_lshl_or_b32 v8, v6, 12, v0
	v_cmp_gt_i32_e32 vcc, 1, v6
	v_cndmask_b32_e32 v4, v8, v4, vcc
	v_and_b32_e32 v8, 7, v4
	v_cmp_lt_i32_e32 vcc, 5, v8
	v_cmp_eq_u32_e64 s[2:3], 3, v8
	v_mul_f64 v[21:22], v[12:13], s[6:7]
	v_lshrrev_b32_e32 v4, 2, v4
	s_or_b64 vcc, s[2:3], vcc
	v_addc_co_u32_e32 v4, vcc, 0, v4, vcc
	v_cmp_gt_i32_e32 vcc, 31, v6
	v_cndmask_b32_e32 v4, v14, v4, vcc
	v_cmp_ne_u32_e32 vcc, 0, v0
	v_cndmask_b32_e64 v0, 0, 1, vcc
	v_lshl_or_b32 v0, v0, 9, v14
	v_cmp_eq_u32_e32 vcc, s15, v6
	v_cndmask_b32_e32 v0, v4, v0, vcc
	v_lshrrev_b32_e32 v4, 16, v18
	v_and_or_b32 v0, v4, s16, v0
	v_and_or_b32 v4, v22, s17, v21
	v_cmp_ne_u32_e32 vcc, 0, v4
	v_cndmask_b32_e64 v4, 0, 1, vcc
	v_lshrrev_b32_e32 v6, 8, v22
	v_bfe_u32 v8, v22, 20, 11
	v_and_or_b32 v4, v6, s14, v4
	v_sub_u32_e32 v10, 0x3f1, v8
	v_or_b32_e32 v6, 0x1000, v4
	v_med3_i32 v10, v10, 0, 13
	v_lshrrev_b32_e32 v12, v10, v6
	v_lshlrev_b32_e32 v10, v10, v12
	v_cmp_ne_u32_e32 vcc, v10, v6
	v_cndmask_b32_e64 v6, 0, 1, vcc
	v_add_u32_e32 v8, 0xfffffc10, v8
	v_or_b32_e32 v6, v12, v6
	v_lshl_or_b32 v10, v8, 12, v4
	v_cmp_gt_i32_e32 vcc, 1, v8
	v_cndmask_b32_e32 v6, v10, v6, vcc
	v_and_b32_e32 v10, 7, v6
	v_cmp_lt_i32_e32 vcc, 5, v10
	v_cmp_eq_u32_e64 s[2:3], 3, v10
	v_add_u32_e32 v10, 0x3700, v54
	ds_read2_b32 v[12:13], v10 offset0:8 offset1:232
	v_lshrrev_b32_e32 v6, 2, v6
	s_or_b64 vcc, s[2:3], vcc
	v_addc_co_u32_e32 v6, vcc, 0, v6, vcc
	s_waitcnt lgkmcnt(0)
	v_lshrrev_b32_e32 v10, 16, v12
	v_mul_f16_sdwa v17, v64, v10 dst_sel:DWORD dst_unused:UNUSED_PAD src0_sel:WORD_1 src1_sel:DWORD
	v_fma_f16 v17, v64, v12, v17
	v_cvt_f32_f16_e32 v17, v17
	v_cmp_gt_i32_e32 vcc, 31, v8
	v_cndmask_b32_e32 v6, v14, v6, vcc
	v_cmp_ne_u32_e32 vcc, 0, v4
	v_cvt_f64_f32_e32 v[17:18], v17
	v_cndmask_b32_e64 v4, 0, 1, vcc
	v_lshl_or_b32 v4, v4, 9, v14
	v_cmp_eq_u32_e32 vcc, s15, v8
	v_mul_f64 v[17:18], v[17:18], s[6:7]
	v_cndmask_b32_e32 v4, v6, v4, vcc
	v_lshrrev_b32_e32 v6, 16, v22
	v_and_or_b32 v4, v6, s16, v4
	v_and_b32_e32 v0, 0xffff, v0
	v_add_co_u32_e32 v19, vcc, s10, v19
	v_lshl_or_b32 v0, v4, 16, v0
	v_addc_co_u32_e32 v20, vcc, v20, v2, vcc
	global_store_dword v[19:20], v0, off
	v_and_or_b32 v0, v18, s17, v17
	v_cmp_ne_u32_e32 vcc, 0, v0
	v_cndmask_b32_e64 v0, 0, 1, vcc
	v_lshrrev_b32_e32 v4, 8, v18
	v_bfe_u32 v6, v18, 20, 11
	v_mul_f16_sdwa v12, v64, v12 dst_sel:DWORD dst_unused:UNUSED_PAD src0_sel:WORD_1 src1_sel:DWORD
	v_and_or_b32 v0, v4, s14, v0
	v_sub_u32_e32 v8, 0x3f1, v6
	v_fma_f16 v10, v64, v10, -v12
	v_or_b32_e32 v4, 0x1000, v0
	v_med3_i32 v8, v8, 0, 13
	v_cvt_f32_f16_e32 v10, v10
	v_lshrrev_b32_e32 v17, v8, v4
	v_lshlrev_b32_e32 v8, v8, v17
	v_cmp_ne_u32_e32 vcc, v8, v4
	v_cndmask_b32_e64 v4, 0, 1, vcc
	v_add_u32_e32 v6, 0xfffffc10, v6
	v_cvt_f64_f32_e32 v[21:22], v10
	v_or_b32_e32 v4, v17, v4
	v_lshl_or_b32 v8, v6, 12, v0
	v_cmp_gt_i32_e32 vcc, 1, v6
	v_cndmask_b32_e32 v4, v8, v4, vcc
	v_and_b32_e32 v8, 7, v4
	v_cmp_lt_i32_e32 vcc, 5, v8
	v_cmp_eq_u32_e64 s[2:3], 3, v8
	v_mul_f64 v[21:22], v[21:22], s[6:7]
	v_lshrrev_b32_e32 v4, 2, v4
	s_or_b64 vcc, s[2:3], vcc
	v_addc_co_u32_e32 v4, vcc, 0, v4, vcc
	v_cmp_gt_i32_e32 vcc, 31, v6
	v_cndmask_b32_e32 v4, v14, v4, vcc
	v_cmp_ne_u32_e32 vcc, 0, v0
	v_cndmask_b32_e64 v0, 0, 1, vcc
	v_lshl_or_b32 v0, v0, 9, v14
	v_cmp_eq_u32_e32 vcc, s15, v6
	v_cndmask_b32_e32 v0, v4, v0, vcc
	v_lshrrev_b32_e32 v4, 16, v18
	v_and_or_b32 v0, v4, s16, v0
	v_and_or_b32 v4, v22, s17, v21
	v_cmp_ne_u32_e32 vcc, 0, v4
	v_cndmask_b32_e64 v4, 0, 1, vcc
	v_lshrrev_b32_e32 v6, 8, v22
	v_bfe_u32 v8, v22, 20, 11
	v_and_or_b32 v4, v6, s14, v4
	v_sub_u32_e32 v10, 0x3f1, v8
	v_or_b32_e32 v6, 0x1000, v4
	v_med3_i32 v10, v10, 0, 13
	v_lshrrev_b32_e32 v12, v10, v6
	v_lshlrev_b32_e32 v10, v10, v12
	v_cmp_ne_u32_e32 vcc, v10, v6
	v_cndmask_b32_e64 v6, 0, 1, vcc
	v_add_u32_e32 v8, 0xfffffc10, v8
	v_or_b32_e32 v6, v12, v6
	v_lshl_or_b32 v10, v8, 12, v4
	v_cmp_gt_i32_e32 vcc, 1, v8
	v_cndmask_b32_e32 v6, v10, v6, vcc
	v_and_b32_e32 v10, 7, v6
	v_cmp_lt_i32_e32 vcc, 5, v10
	v_cmp_eq_u32_e64 s[2:3], 3, v10
	v_add_u32_e32 v10, 0x4000, v54
	ds_read2_b32 v[17:18], v10 offset0:20 offset1:244
	v_lshrrev_b32_e32 v6, 2, v6
	s_or_b64 vcc, s[2:3], vcc
	v_addc_co_u32_e32 v6, vcc, 0, v6, vcc
	s_waitcnt lgkmcnt(0)
	v_lshrrev_b32_e32 v10, 16, v17
	v_mul_f16_sdwa v12, v63, v10 dst_sel:DWORD dst_unused:UNUSED_PAD src0_sel:WORD_1 src1_sel:DWORD
	v_fma_f16 v12, v63, v17, v12
	v_cvt_f32_f16_e32 v12, v12
	v_cmp_gt_i32_e32 vcc, 31, v8
	v_cndmask_b32_e32 v6, v14, v6, vcc
	v_cmp_ne_u32_e32 vcc, 0, v4
	v_cvt_f64_f32_e32 v[23:24], v12
	v_cndmask_b32_e64 v4, 0, 1, vcc
	v_lshl_or_b32 v4, v4, 9, v14
	v_cmp_eq_u32_e32 vcc, s15, v8
	v_cndmask_b32_e32 v4, v6, v4, vcc
	v_lshrrev_b32_e32 v6, 16, v22
	v_mul_f64 v[21:22], v[23:24], s[6:7]
	v_and_or_b32 v4, v6, s16, v4
	v_and_b32_e32 v0, 0xffff, v0
	v_add_co_u32_e32 v19, vcc, s10, v19
	v_lshl_or_b32 v0, v4, 16, v0
	v_addc_co_u32_e32 v20, vcc, v20, v2, vcc
	global_store_dword v[19:20], v0, off
	v_and_or_b32 v0, v22, s17, v21
	v_cmp_ne_u32_e32 vcc, 0, v0
	v_cndmask_b32_e64 v0, 0, 1, vcc
	v_lshrrev_b32_e32 v4, 8, v22
	v_bfe_u32 v6, v22, 20, 11
	v_and_or_b32 v0, v4, s14, v0
	v_sub_u32_e32 v8, 0x3f1, v6
	v_or_b32_e32 v4, 0x1000, v0
	v_med3_i32 v8, v8, 0, 13
	v_lshrrev_b32_e32 v12, v8, v4
	v_lshlrev_b32_e32 v8, v8, v12
	v_cmp_ne_u32_e32 vcc, v8, v4
	v_cndmask_b32_e64 v4, 0, 1, vcc
	v_or_b32_e32 v4, v12, v4
	v_mul_f16_sdwa v12, v63, v17 dst_sel:DWORD dst_unused:UNUSED_PAD src0_sel:WORD_1 src1_sel:DWORD
	v_fma_f16 v10, v63, v10, -v12
	v_cvt_f32_f16_e32 v10, v10
	v_add_u32_e32 v6, 0xfffffc10, v6
	v_lshl_or_b32 v8, v6, 12, v0
	v_cmp_gt_i32_e32 vcc, 1, v6
	v_cvt_f64_f32_e32 v[23:24], v10
	v_cndmask_b32_e32 v4, v8, v4, vcc
	v_and_b32_e32 v8, 7, v4
	v_cmp_lt_i32_e32 vcc, 5, v8
	v_cmp_eq_u32_e64 s[2:3], 3, v8
	v_mul_f64 v[23:24], v[23:24], s[6:7]
	v_lshrrev_b32_e32 v4, 2, v4
	s_or_b64 vcc, s[2:3], vcc
	v_addc_co_u32_e32 v4, vcc, 0, v4, vcc
	v_cmp_gt_i32_e32 vcc, 31, v6
	v_cndmask_b32_e32 v4, v14, v4, vcc
	v_cmp_ne_u32_e32 vcc, 0, v0
	v_cndmask_b32_e64 v0, 0, 1, vcc
	v_lshl_or_b32 v0, v0, 9, v14
	v_cmp_eq_u32_e32 vcc, s15, v6
	v_cndmask_b32_e32 v0, v4, v0, vcc
	v_lshrrev_b32_e32 v4, 16, v22
	v_and_or_b32 v0, v4, s16, v0
	v_and_or_b32 v4, v24, s17, v23
	v_cmp_ne_u32_e32 vcc, 0, v4
	v_cndmask_b32_e64 v4, 0, 1, vcc
	v_lshrrev_b32_e32 v6, 8, v24
	v_bfe_u32 v8, v24, 20, 11
	v_and_or_b32 v4, v6, s14, v4
	v_sub_u32_e32 v10, 0x3f1, v8
	v_or_b32_e32 v6, 0x1000, v4
	v_med3_i32 v10, v10, 0, 13
	v_lshrrev_b32_e32 v12, v10, v6
	v_lshlrev_b32_e32 v10, v10, v12
	v_cmp_ne_u32_e32 vcc, v10, v6
	v_cndmask_b32_e64 v6, 0, 1, vcc
	v_add_u32_e32 v8, 0xfffffc10, v8
	v_or_b32_e32 v6, v12, v6
	v_lshl_or_b32 v10, v8, 12, v4
	v_cmp_gt_i32_e32 vcc, 1, v8
	v_cndmask_b32_e32 v6, v10, v6, vcc
	v_and_b32_e32 v10, 7, v6
	v_cmp_lt_i32_e32 vcc, 5, v10
	v_cmp_eq_u32_e64 s[2:3], 3, v10
	v_lshrrev_b32_e32 v10, 16, v1
	v_mul_f16_sdwa v12, v62, v10 dst_sel:DWORD dst_unused:UNUSED_PAD src0_sel:WORD_1 src1_sel:DWORD
	v_fma_f16 v12, v62, v1, v12
	v_cvt_f32_f16_e32 v12, v12
	v_lshrrev_b32_e32 v6, 2, v6
	s_or_b64 vcc, s[2:3], vcc
	v_addc_co_u32_e32 v6, vcc, 0, v6, vcc
	v_cvt_f64_f32_e32 v[21:22], v12
	v_cmp_gt_i32_e32 vcc, 31, v8
	v_cndmask_b32_e32 v6, v14, v6, vcc
	v_cmp_ne_u32_e32 vcc, 0, v4
	v_mul_f64 v[21:22], v[21:22], s[6:7]
	v_cndmask_b32_e64 v4, 0, 1, vcc
	v_lshl_or_b32 v4, v4, 9, v14
	v_cmp_eq_u32_e32 vcc, s15, v8
	v_cndmask_b32_e32 v4, v6, v4, vcc
	v_lshrrev_b32_e32 v6, 16, v24
	v_and_or_b32 v4, v6, s16, v4
	v_and_b32_e32 v0, 0xffff, v0
	v_add_co_u32_e32 v19, vcc, s10, v19
	v_lshl_or_b32 v0, v4, 16, v0
	v_addc_co_u32_e32 v20, vcc, v20, v2, vcc
	global_store_dword v[19:20], v0, off
	v_and_or_b32 v0, v22, s17, v21
	v_cmp_ne_u32_e32 vcc, 0, v0
	v_cndmask_b32_e64 v0, 0, 1, vcc
	v_lshrrev_b32_e32 v4, 8, v22
	v_bfe_u32 v6, v22, 20, 11
	v_and_or_b32 v4, v4, s14, v0
	v_sub_u32_e32 v8, 0x3f1, v6
	v_or_b32_e32 v0, 0x1000, v4
	v_med3_i32 v8, v8, 0, 13
	v_lshrrev_b32_e32 v12, v8, v0
	v_lshlrev_b32_e32 v8, v8, v12
	v_mul_f16_sdwa v1, v62, v1 dst_sel:DWORD dst_unused:UNUSED_PAD src0_sel:WORD_1 src1_sel:DWORD
	v_cmp_ne_u32_e32 vcc, v8, v0
	v_fma_f16 v1, v62, v10, -v1
	v_cndmask_b32_e64 v0, 0, 1, vcc
	v_add_u32_e32 v6, 0xfffffc10, v6
	v_cvt_f32_f16_e32 v1, v1
	v_or_b32_e32 v0, v12, v0
	v_lshl_or_b32 v8, v6, 12, v4
	v_cmp_gt_i32_e32 vcc, 1, v6
	v_cndmask_b32_e32 v0, v8, v0, vcc
	v_and_b32_e32 v8, 7, v0
	v_cmp_lt_i32_e32 vcc, 5, v8
	v_cmp_eq_u32_e64 s[2:3], 3, v8
	v_lshrrev_b32_e32 v8, 2, v0
	v_cvt_f64_f32_e32 v[0:1], v1
	s_or_b64 vcc, s[2:3], vcc
	v_addc_co_u32_e32 v8, vcc, 0, v8, vcc
	v_mul_f64 v[0:1], v[0:1], s[6:7]
	v_cmp_gt_i32_e32 vcc, 31, v6
	v_cndmask_b32_e32 v8, v14, v8, vcc
	v_cmp_ne_u32_e32 vcc, 0, v4
	v_cndmask_b32_e64 v4, 0, 1, vcc
	v_lshl_or_b32 v4, v4, 9, v14
	v_cmp_eq_u32_e32 vcc, s15, v6
	v_cndmask_b32_e32 v4, v8, v4, vcc
	v_and_or_b32 v0, v1, s17, v0
	v_lshrrev_b32_e32 v6, 16, v22
	v_cmp_ne_u32_e32 vcc, 0, v0
	v_and_or_b32 v4, v6, s16, v4
	v_cndmask_b32_e64 v0, 0, 1, vcc
	v_lshrrev_b32_e32 v6, 8, v1
	v_bfe_u32 v8, v1, 20, 11
	v_and_or_b32 v0, v6, s14, v0
	v_sub_u32_e32 v10, 0x3f1, v8
	v_or_b32_e32 v6, 0x1000, v0
	v_med3_i32 v10, v10, 0, 13
	v_lshrrev_b32_e32 v12, v10, v6
	v_lshlrev_b32_e32 v10, v10, v12
	v_cmp_ne_u32_e32 vcc, v10, v6
	v_cndmask_b32_e64 v6, 0, 1, vcc
	v_add_u32_e32 v8, 0xfffffc10, v8
	v_or_b32_e32 v6, v12, v6
	v_lshl_or_b32 v10, v8, 12, v0
	v_cmp_gt_i32_e32 vcc, 1, v8
	v_cndmask_b32_e32 v6, v10, v6, vcc
	v_and_b32_e32 v10, 7, v6
	v_cmp_lt_i32_e32 vcc, 5, v10
	v_cmp_eq_u32_e64 s[2:3], 3, v10
	v_lshrrev_b32_e32 v6, 2, v6
	s_or_b64 vcc, s[2:3], vcc
	v_addc_co_u32_e32 v6, vcc, 0, v6, vcc
	v_cmp_gt_i32_e32 vcc, 31, v8
	v_cndmask_b32_e32 v6, v14, v6, vcc
	v_cmp_ne_u32_e32 vcc, 0, v0
	v_cndmask_b32_e64 v0, 0, 1, vcc
	v_lshl_or_b32 v0, v0, 9, v14
	v_cmp_eq_u32_e32 vcc, s15, v8
	v_cndmask_b32_e32 v0, v6, v0, vcc
	v_lshrrev_b32_e32 v1, 16, v1
	v_lshrrev_b32_e32 v8, 16, v3
	v_and_or_b32 v6, v1, s16, v0
	v_mul_f16_sdwa v0, v61, v8 dst_sel:DWORD dst_unused:UNUSED_PAD src0_sel:WORD_1 src1_sel:DWORD
	v_fma_f16 v0, v61, v3, v0
	v_cvt_f32_f16_e32 v0, v0
	s_mul_hi_u32 s3, s8, 0xfffff0cc
	s_mul_i32 s2, s9, 0xfffff0cc
	s_sub_i32 s3, s3, s8
	v_cvt_f64_f32_e32 v[0:1], v0
	s_add_i32 s3, s3, s2
	s_mul_i32 s2, s8, 0xfffff0cc
	v_and_b32_e32 v4, 0xffff, v4
	v_mul_f64 v[0:1], v[0:1], s[6:7]
	s_lshl_b64 s[4:5], s[2:3], 2
	v_lshl_or_b32 v4, v6, 16, v4
	v_mov_b32_e32 v6, s5
	v_add_co_u32_e32 v19, vcc, s4, v19
	v_addc_co_u32_e32 v20, vcc, v20, v6, vcc
	v_and_or_b32 v0, v1, s17, v0
	v_cmp_ne_u32_e32 vcc, 0, v0
	global_store_dword v[19:20], v4, off
	v_cndmask_b32_e64 v0, 0, 1, vcc
	v_lshrrev_b32_e32 v4, 8, v1
	v_bfe_u32 v6, v1, 20, 11
	v_and_or_b32 v0, v4, s14, v0
	v_sub_u32_e32 v10, 0x3f1, v6
	v_or_b32_e32 v4, 0x1000, v0
	v_med3_i32 v10, v10, 0, 13
	v_lshrrev_b32_e32 v12, v10, v4
	v_mul_f16_sdwa v3, v61, v3 dst_sel:DWORD dst_unused:UNUSED_PAD src0_sel:WORD_1 src1_sel:DWORD
	v_lshlrev_b32_e32 v10, v10, v12
	v_fma_f16 v3, v61, v8, -v3
	v_cmp_ne_u32_e32 vcc, v10, v4
	v_cvt_f32_f16_e32 v3, v3
	v_cndmask_b32_e64 v4, 0, 1, vcc
	v_add_u32_e32 v6, 0xfffffc10, v6
	v_or_b32_e32 v4, v12, v4
	v_lshl_or_b32 v10, v6, 12, v0
	v_cmp_gt_i32_e32 vcc, 1, v6
	v_cndmask_b32_e32 v4, v10, v4, vcc
	v_and_b32_e32 v10, 7, v4
	v_lshrrev_b32_e32 v8, 2, v4
	v_cvt_f64_f32_e32 v[3:4], v3
	v_cmp_lt_i32_e32 vcc, 5, v10
	v_cmp_eq_u32_e64 s[2:3], 3, v10
	s_or_b64 vcc, s[2:3], vcc
	v_mul_f64 v[3:4], v[3:4], s[6:7]
	v_addc_co_u32_e32 v8, vcc, 0, v8, vcc
	v_cmp_gt_i32_e32 vcc, 31, v6
	v_cndmask_b32_e32 v8, v14, v8, vcc
	v_cmp_ne_u32_e32 vcc, 0, v0
	v_cndmask_b32_e64 v0, 0, 1, vcc
	v_lshl_or_b32 v0, v0, 9, v14
	v_cmp_eq_u32_e32 vcc, s15, v6
	v_cndmask_b32_e32 v0, v8, v0, vcc
	v_lshrrev_b32_e32 v1, 16, v1
	v_and_or_b32 v6, v1, s16, v0
	v_and_or_b32 v0, v4, s17, v3
	v_cmp_ne_u32_e32 vcc, 0, v0
	v_cndmask_b32_e64 v0, 0, 1, vcc
	v_lshrrev_b32_e32 v1, 8, v4
	v_bfe_u32 v3, v4, 20, 11
	v_and_or_b32 v0, v1, s14, v0
	v_sub_u32_e32 v8, 0x3f1, v3
	v_or_b32_e32 v1, 0x1000, v0
	v_med3_i32 v8, v8, 0, 13
	v_lshrrev_b32_e32 v10, v8, v1
	v_lshlrev_b32_e32 v8, v8, v10
	v_cmp_ne_u32_e32 vcc, v8, v1
	v_cndmask_b32_e64 v1, 0, 1, vcc
	v_add_u32_e32 v3, 0xfffffc10, v3
	v_or_b32_e32 v1, v10, v1
	v_lshl_or_b32 v8, v3, 12, v0
	v_cmp_gt_i32_e32 vcc, 1, v3
	v_cndmask_b32_e32 v1, v8, v1, vcc
	v_and_b32_e32 v8, 7, v1
	v_cmp_lt_i32_e32 vcc, 5, v8
	v_cmp_eq_u32_e64 s[2:3], 3, v8
	v_lshrrev_b32_e32 v1, 2, v1
	s_or_b64 vcc, s[2:3], vcc
	v_addc_co_u32_e32 v1, vcc, 0, v1, vcc
	v_cmp_gt_i32_e32 vcc, 31, v3
	v_lshrrev_b32_e32 v10, 16, v5
	v_cndmask_b32_e32 v8, v14, v1, vcc
	v_mul_f16_sdwa v1, v60, v10 dst_sel:DWORD dst_unused:UNUSED_PAD src0_sel:WORD_1 src1_sel:DWORD
	v_fma_f16 v1, v60, v5, v1
	v_cvt_f32_f16_e32 v1, v1
	v_cmp_ne_u32_e32 vcc, 0, v0
	v_cndmask_b32_e64 v0, 0, 1, vcc
	v_lshl_or_b32 v12, v0, 9, v14
	v_cvt_f64_f32_e32 v[0:1], v1
	v_cmp_eq_u32_e32 vcc, s15, v3
	v_cndmask_b32_e32 v3, v8, v12, vcc
	v_lshrrev_b32_e32 v4, 16, v4
	v_mul_f64 v[0:1], v[0:1], s[6:7]
	v_and_or_b32 v3, v4, s16, v3
	v_and_b32_e32 v4, 0xffff, v6
	v_lshl_or_b32 v6, v3, 16, v4
	v_add_co_u32_e32 v3, vcc, s10, v19
	v_addc_co_u32_e32 v4, vcc, v20, v2, vcc
	v_and_or_b32 v0, v1, s17, v0
	v_cmp_ne_u32_e32 vcc, 0, v0
	global_store_dword v[3:4], v6, off
	v_cndmask_b32_e64 v0, 0, 1, vcc
	v_lshrrev_b32_e32 v6, 8, v1
	v_bfe_u32 v8, v1, 20, 11
	v_and_or_b32 v0, v6, s14, v0
	v_sub_u32_e32 v12, 0x3f1, v8
	v_or_b32_e32 v6, 0x1000, v0
	v_med3_i32 v12, v12, 0, 13
	v_lshrrev_b32_e32 v17, v12, v6
	v_mul_f16_sdwa v5, v60, v5 dst_sel:DWORD dst_unused:UNUSED_PAD src0_sel:WORD_1 src1_sel:DWORD
	v_lshlrev_b32_e32 v12, v12, v17
	v_fma_f16 v5, v60, v10, -v5
	v_cmp_ne_u32_e32 vcc, v12, v6
	v_cvt_f32_f16_e32 v5, v5
	v_cndmask_b32_e64 v6, 0, 1, vcc
	v_add_u32_e32 v8, 0xfffffc10, v8
	v_or_b32_e32 v6, v17, v6
	v_lshl_or_b32 v12, v8, 12, v0
	v_cmp_gt_i32_e32 vcc, 1, v8
	v_cndmask_b32_e32 v6, v12, v6, vcc
	v_and_b32_e32 v12, 7, v6
	v_lshrrev_b32_e32 v10, 2, v6
	v_cvt_f64_f32_e32 v[5:6], v5
	v_cmp_lt_i32_e32 vcc, 5, v12
	v_cmp_eq_u32_e64 s[2:3], 3, v12
	s_or_b64 vcc, s[2:3], vcc
	v_mul_f64 v[5:6], v[5:6], s[6:7]
	v_addc_co_u32_e32 v10, vcc, 0, v10, vcc
	v_cmp_gt_i32_e32 vcc, 31, v8
	v_cndmask_b32_e32 v10, v14, v10, vcc
	v_cmp_ne_u32_e32 vcc, 0, v0
	v_cndmask_b32_e64 v0, 0, 1, vcc
	v_lshl_or_b32 v0, v0, 9, v14
	v_cmp_eq_u32_e32 vcc, s15, v8
	v_cndmask_b32_e32 v0, v10, v0, vcc
	v_lshrrev_b32_e32 v1, 16, v1
	v_and_or_b32 v8, v1, s16, v0
	v_and_or_b32 v0, v6, s17, v5
	v_cmp_ne_u32_e32 vcc, 0, v0
	v_cndmask_b32_e64 v0, 0, 1, vcc
	v_lshrrev_b32_e32 v1, 8, v6
	v_bfe_u32 v5, v6, 20, 11
	v_and_or_b32 v0, v1, s14, v0
	v_sub_u32_e32 v10, 0x3f1, v5
	v_or_b32_e32 v1, 0x1000, v0
	v_med3_i32 v10, v10, 0, 13
	v_lshrrev_b32_e32 v12, v10, v1
	v_lshlrev_b32_e32 v10, v10, v12
	v_cmp_ne_u32_e32 vcc, v10, v1
	v_cndmask_b32_e64 v1, 0, 1, vcc
	v_add_u32_e32 v5, 0xfffffc10, v5
	v_or_b32_e32 v1, v12, v1
	v_lshl_or_b32 v10, v5, 12, v0
	v_cmp_gt_i32_e32 vcc, 1, v5
	v_cndmask_b32_e32 v1, v10, v1, vcc
	v_and_b32_e32 v10, 7, v1
	v_cmp_lt_i32_e32 vcc, 5, v10
	v_cmp_eq_u32_e64 s[2:3], 3, v10
	v_lshrrev_b32_e32 v1, 2, v1
	s_or_b64 vcc, s[2:3], vcc
	v_addc_co_u32_e32 v1, vcc, 0, v1, vcc
	v_cmp_gt_i32_e32 vcc, 31, v5
	v_lshrrev_b32_e32 v12, 16, v7
	v_cndmask_b32_e32 v10, v14, v1, vcc
	v_mul_f16_sdwa v1, v59, v12 dst_sel:DWORD dst_unused:UNUSED_PAD src0_sel:WORD_1 src1_sel:DWORD
	v_fma_f16 v1, v59, v7, v1
	v_cvt_f32_f16_e32 v1, v1
	v_cmp_ne_u32_e32 vcc, 0, v0
	v_cndmask_b32_e64 v0, 0, 1, vcc
	v_lshl_or_b32 v17, v0, 9, v14
	v_cvt_f64_f32_e32 v[0:1], v1
	v_cmp_eq_u32_e32 vcc, s15, v5
	v_cndmask_b32_e32 v5, v10, v17, vcc
	v_lshrrev_b32_e32 v6, 16, v6
	v_mul_f64 v[0:1], v[0:1], s[6:7]
	v_add_co_u32_e32 v3, vcc, s10, v3
	v_and_or_b32 v5, v6, s16, v5
	v_and_b32_e32 v6, 0xffff, v8
	v_addc_co_u32_e32 v4, vcc, v4, v2, vcc
	v_lshl_or_b32 v5, v5, 16, v6
	v_and_or_b32 v0, v1, s17, v0
	v_cmp_ne_u32_e32 vcc, 0, v0
	global_store_dword v[3:4], v5, off
	v_cndmask_b32_e64 v0, 0, 1, vcc
	v_lshrrev_b32_e32 v5, 8, v1
	v_bfe_u32 v6, v1, 20, 11
	v_and_or_b32 v0, v5, s14, v0
	v_sub_u32_e32 v8, 0x3f1, v6
	v_or_b32_e32 v5, 0x1000, v0
	v_med3_i32 v8, v8, 0, 13
	v_lshrrev_b32_e32 v10, v8, v5
	v_lshlrev_b32_e32 v8, v8, v10
	v_mul_f16_sdwa v7, v59, v7 dst_sel:DWORD dst_unused:UNUSED_PAD src0_sel:WORD_1 src1_sel:DWORD
	v_cmp_ne_u32_e32 vcc, v8, v5
	v_fma_f16 v7, v59, v12, -v7
	v_cndmask_b32_e64 v5, 0, 1, vcc
	v_add_u32_e32 v8, 0xfffffc10, v6
	v_cvt_f32_f16_e32 v7, v7
	v_or_b32_e32 v5, v10, v5
	v_lshl_or_b32 v6, v8, 12, v0
	v_cmp_gt_i32_e32 vcc, 1, v8
	v_cndmask_b32_e32 v5, v6, v5, vcc
	v_and_b32_e32 v6, 7, v5
	v_cmp_lt_i32_e32 vcc, 5, v6
	v_cmp_eq_u32_e64 s[2:3], 3, v6
	v_lshrrev_b32_e32 v10, 2, v5
	v_cvt_f64_f32_e32 v[5:6], v7
	s_or_b64 vcc, s[2:3], vcc
	v_addc_co_u32_e32 v7, vcc, 0, v10, vcc
	v_mul_f64 v[5:6], v[5:6], s[6:7]
	v_cmp_gt_i32_e32 vcc, 31, v8
	v_cndmask_b32_e32 v7, v14, v7, vcc
	v_cmp_ne_u32_e32 vcc, 0, v0
	v_cndmask_b32_e64 v0, 0, 1, vcc
	v_lshl_or_b32 v0, v0, 9, v14
	v_cmp_eq_u32_e32 vcc, s15, v8
	v_cndmask_b32_e32 v0, v7, v0, vcc
	v_lshrrev_b32_e32 v1, 16, v1
	v_and_or_b32 v7, v1, s16, v0
	v_and_or_b32 v0, v6, s17, v5
	v_cmp_ne_u32_e32 vcc, 0, v0
	v_cndmask_b32_e64 v0, 0, 1, vcc
	v_lshrrev_b32_e32 v1, 8, v6
	v_bfe_u32 v5, v6, 20, 11
	v_and_or_b32 v0, v1, s14, v0
	v_sub_u32_e32 v8, 0x3f1, v5
	v_or_b32_e32 v1, 0x1000, v0
	v_med3_i32 v8, v8, 0, 13
	v_lshrrev_b32_e32 v10, v8, v1
	v_lshlrev_b32_e32 v8, v8, v10
	v_cmp_ne_u32_e32 vcc, v8, v1
	v_cndmask_b32_e64 v1, 0, 1, vcc
	v_add_u32_e32 v5, 0xfffffc10, v5
	v_or_b32_e32 v1, v10, v1
	v_lshl_or_b32 v8, v5, 12, v0
	v_cmp_gt_i32_e32 vcc, 1, v5
	v_cndmask_b32_e32 v1, v8, v1, vcc
	v_and_b32_e32 v8, 7, v1
	v_cmp_lt_i32_e32 vcc, 5, v8
	v_cmp_eq_u32_e64 s[2:3], 3, v8
	v_lshrrev_b32_e32 v1, 2, v1
	s_or_b64 vcc, s[2:3], vcc
	v_addc_co_u32_e32 v1, vcc, 0, v1, vcc
	v_cmp_gt_i32_e32 vcc, 31, v5
	v_lshrrev_b32_e32 v10, 16, v9
	v_cndmask_b32_e32 v8, v14, v1, vcc
	v_mul_f16_sdwa v1, v58, v10 dst_sel:DWORD dst_unused:UNUSED_PAD src0_sel:WORD_1 src1_sel:DWORD
	v_fma_f16 v1, v58, v9, v1
	v_cvt_f32_f16_e32 v1, v1
	v_cmp_ne_u32_e32 vcc, 0, v0
	v_cndmask_b32_e64 v0, 0, 1, vcc
	v_lshl_or_b32 v12, v0, 9, v14
	v_cvt_f64_f32_e32 v[0:1], v1
	v_cmp_eq_u32_e32 vcc, s15, v5
	v_cndmask_b32_e32 v5, v8, v12, vcc
	v_lshrrev_b32_e32 v6, 16, v6
	v_mul_f64 v[0:1], v[0:1], s[6:7]
	v_add_co_u32_e32 v3, vcc, s10, v3
	v_and_or_b32 v5, v6, s16, v5
	v_and_b32_e32 v6, 0xffff, v7
	v_addc_co_u32_e32 v4, vcc, v4, v2, vcc
	v_lshl_or_b32 v5, v5, 16, v6
	v_and_or_b32 v0, v1, s17, v0
	v_cmp_ne_u32_e32 vcc, 0, v0
	global_store_dword v[3:4], v5, off
	v_cndmask_b32_e64 v0, 0, 1, vcc
	v_lshrrev_b32_e32 v5, 8, v1
	v_bfe_u32 v6, v1, 20, 11
	v_and_or_b32 v0, v5, s14, v0
	v_sub_u32_e32 v7, 0x3f1, v6
	v_or_b32_e32 v5, 0x1000, v0
	v_med3_i32 v7, v7, 0, 13
	v_lshrrev_b32_e32 v8, v7, v5
	v_lshlrev_b32_e32 v7, v7, v8
	v_cmp_ne_u32_e32 vcc, v7, v5
	v_cndmask_b32_e64 v5, 0, 1, vcc
	v_or_b32_e32 v5, v8, v5
	v_mul_f16_sdwa v8, v58, v9 dst_sel:DWORD dst_unused:UNUSED_PAD src0_sel:WORD_1 src1_sel:DWORD
	v_fma_f16 v8, v58, v10, -v8
	v_add_u32_e32 v7, 0xfffffc10, v6
	v_cvt_f32_f16_e32 v8, v8
	v_lshl_or_b32 v6, v7, 12, v0
	v_cmp_gt_i32_e32 vcc, 1, v7
	v_cndmask_b32_e32 v5, v6, v5, vcc
	v_and_b32_e32 v6, 7, v5
	v_cmp_lt_i32_e32 vcc, 5, v6
	v_cmp_eq_u32_e64 s[2:3], 3, v6
	v_lshrrev_b32_e32 v9, 2, v5
	v_cvt_f64_f32_e32 v[5:6], v8
	s_or_b64 vcc, s[2:3], vcc
	v_addc_co_u32_e32 v8, vcc, 0, v9, vcc
	v_mul_f64 v[5:6], v[5:6], s[6:7]
	v_cmp_gt_i32_e32 vcc, 31, v7
	v_cndmask_b32_e32 v8, v14, v8, vcc
	v_cmp_ne_u32_e32 vcc, 0, v0
	v_cndmask_b32_e64 v0, 0, 1, vcc
	v_lshl_or_b32 v0, v0, 9, v14
	v_cmp_eq_u32_e32 vcc, s15, v7
	v_cndmask_b32_e32 v0, v8, v0, vcc
	v_lshrrev_b32_e32 v1, 16, v1
	v_and_or_b32 v7, v1, s16, v0
	v_and_or_b32 v0, v6, s17, v5
	v_cmp_ne_u32_e32 vcc, 0, v0
	v_cndmask_b32_e64 v0, 0, 1, vcc
	v_lshrrev_b32_e32 v1, 8, v6
	v_bfe_u32 v5, v6, 20, 11
	v_and_or_b32 v0, v1, s14, v0
	v_sub_u32_e32 v8, 0x3f1, v5
	v_or_b32_e32 v1, 0x1000, v0
	v_med3_i32 v8, v8, 0, 13
	v_lshrrev_b32_e32 v9, v8, v1
	v_lshlrev_b32_e32 v8, v8, v9
	v_cmp_ne_u32_e32 vcc, v8, v1
	v_cndmask_b32_e64 v1, 0, 1, vcc
	v_add_u32_e32 v5, 0xfffffc10, v5
	v_or_b32_e32 v1, v9, v1
	v_lshl_or_b32 v8, v5, 12, v0
	v_cmp_gt_i32_e32 vcc, 1, v5
	v_cndmask_b32_e32 v1, v8, v1, vcc
	v_and_b32_e32 v8, 7, v1
	v_cmp_lt_i32_e32 vcc, 5, v8
	v_cmp_eq_u32_e64 s[2:3], 3, v8
	v_lshrrev_b32_e32 v1, 2, v1
	s_or_b64 vcc, s[2:3], vcc
	v_addc_co_u32_e32 v1, vcc, 0, v1, vcc
	v_cmp_gt_i32_e32 vcc, 31, v5
	v_lshrrev_b32_e32 v9, 16, v11
	v_cndmask_b32_e32 v8, v14, v1, vcc
	v_mul_f16_sdwa v1, v57, v9 dst_sel:DWORD dst_unused:UNUSED_PAD src0_sel:WORD_1 src1_sel:DWORD
	v_fma_f16 v1, v57, v11, v1
	v_cvt_f32_f16_e32 v1, v1
	v_cmp_ne_u32_e32 vcc, 0, v0
	v_cndmask_b32_e64 v0, 0, 1, vcc
	v_lshl_or_b32 v10, v0, 9, v14
	v_cvt_f64_f32_e32 v[0:1], v1
	v_cmp_eq_u32_e32 vcc, s15, v5
	v_cndmask_b32_e32 v5, v8, v10, vcc
	v_lshrrev_b32_e32 v6, 16, v6
	v_mul_f64 v[0:1], v[0:1], s[6:7]
	v_add_co_u32_e32 v3, vcc, s10, v3
	v_and_or_b32 v5, v6, s16, v5
	v_and_b32_e32 v6, 0xffff, v7
	v_addc_co_u32_e32 v4, vcc, v4, v2, vcc
	v_lshl_or_b32 v5, v5, 16, v6
	v_and_or_b32 v0, v1, s17, v0
	v_cmp_ne_u32_e32 vcc, 0, v0
	global_store_dword v[3:4], v5, off
	v_cndmask_b32_e64 v0, 0, 1, vcc
	v_lshrrev_b32_e32 v5, 8, v1
	v_bfe_u32 v6, v1, 20, 11
	v_and_or_b32 v0, v5, s14, v0
	v_sub_u32_e32 v7, 0x3f1, v6
	v_or_b32_e32 v5, 0x1000, v0
	v_med3_i32 v7, v7, 0, 13
	v_lshrrev_b32_e32 v8, v7, v5
	v_lshlrev_b32_e32 v7, v7, v8
	v_cmp_ne_u32_e32 vcc, v7, v5
	v_cndmask_b32_e64 v5, 0, 1, vcc
	v_or_b32_e32 v5, v8, v5
	v_mul_f16_sdwa v8, v57, v11 dst_sel:DWORD dst_unused:UNUSED_PAD src0_sel:WORD_1 src1_sel:DWORD
	v_fma_f16 v8, v57, v9, -v8
	v_add_u32_e32 v7, 0xfffffc10, v6
	v_cvt_f32_f16_e32 v8, v8
	v_lshl_or_b32 v6, v7, 12, v0
	v_cmp_gt_i32_e32 vcc, 1, v7
	v_cndmask_b32_e32 v5, v6, v5, vcc
	v_and_b32_e32 v6, 7, v5
	v_cmp_lt_i32_e32 vcc, 5, v6
	v_cmp_eq_u32_e64 s[2:3], 3, v6
	v_lshrrev_b32_e32 v9, 2, v5
	v_cvt_f64_f32_e32 v[5:6], v8
	s_or_b64 vcc, s[2:3], vcc
	v_addc_co_u32_e32 v8, vcc, 0, v9, vcc
	v_mul_f64 v[5:6], v[5:6], s[6:7]
	v_cmp_gt_i32_e32 vcc, 31, v7
	v_cndmask_b32_e32 v8, v14, v8, vcc
	v_cmp_ne_u32_e32 vcc, 0, v0
	v_cndmask_b32_e64 v0, 0, 1, vcc
	v_lshl_or_b32 v0, v0, 9, v14
	v_cmp_eq_u32_e32 vcc, s15, v7
	v_cndmask_b32_e32 v0, v8, v0, vcc
	v_lshrrev_b32_e32 v1, 16, v1
	v_and_or_b32 v7, v1, s16, v0
	v_and_or_b32 v0, v6, s17, v5
	v_cmp_ne_u32_e32 vcc, 0, v0
	v_cndmask_b32_e64 v0, 0, 1, vcc
	v_lshrrev_b32_e32 v1, 8, v6
	v_bfe_u32 v5, v6, 20, 11
	v_and_or_b32 v0, v1, s14, v0
	v_sub_u32_e32 v8, 0x3f1, v5
	v_or_b32_e32 v1, 0x1000, v0
	v_med3_i32 v8, v8, 0, 13
	v_lshrrev_b32_e32 v9, v8, v1
	v_lshlrev_b32_e32 v8, v8, v9
	v_cmp_ne_u32_e32 vcc, v8, v1
	v_cndmask_b32_e64 v1, 0, 1, vcc
	v_add_u32_e32 v5, 0xfffffc10, v5
	v_or_b32_e32 v1, v9, v1
	v_lshl_or_b32 v8, v5, 12, v0
	v_cmp_gt_i32_e32 vcc, 1, v5
	v_cndmask_b32_e32 v1, v8, v1, vcc
	v_and_b32_e32 v8, 7, v1
	v_cmp_lt_i32_e32 vcc, 5, v8
	v_cmp_eq_u32_e64 s[2:3], 3, v8
	v_lshrrev_b32_e32 v1, 2, v1
	s_or_b64 vcc, s[2:3], vcc
	v_addc_co_u32_e32 v1, vcc, 0, v1, vcc
	v_cmp_gt_i32_e32 vcc, 31, v5
	v_lshrrev_b32_e32 v9, 16, v13
	v_cndmask_b32_e32 v8, v14, v1, vcc
	v_mul_f16_sdwa v1, v56, v9 dst_sel:DWORD dst_unused:UNUSED_PAD src0_sel:WORD_1 src1_sel:DWORD
	v_fma_f16 v1, v56, v13, v1
	v_cvt_f32_f16_e32 v1, v1
	v_cmp_ne_u32_e32 vcc, 0, v0
	v_cndmask_b32_e64 v0, 0, 1, vcc
	v_lshl_or_b32 v10, v0, 9, v14
	v_cvt_f64_f32_e32 v[0:1], v1
	v_cmp_eq_u32_e32 vcc, s15, v5
	v_cndmask_b32_e32 v5, v8, v10, vcc
	v_lshrrev_b32_e32 v6, 16, v6
	v_mul_f64 v[0:1], v[0:1], s[6:7]
	v_add_co_u32_e32 v3, vcc, s10, v3
	v_and_or_b32 v5, v6, s16, v5
	v_and_b32_e32 v6, 0xffff, v7
	v_addc_co_u32_e32 v4, vcc, v4, v2, vcc
	v_lshl_or_b32 v5, v5, 16, v6
	v_and_or_b32 v0, v1, s17, v0
	v_cmp_ne_u32_e32 vcc, 0, v0
	global_store_dword v[3:4], v5, off
	v_cndmask_b32_e64 v0, 0, 1, vcc
	v_lshrrev_b32_e32 v5, 8, v1
	v_bfe_u32 v6, v1, 20, 11
	v_and_or_b32 v0, v5, s14, v0
	v_sub_u32_e32 v7, 0x3f1, v6
	v_or_b32_e32 v5, 0x1000, v0
	v_med3_i32 v7, v7, 0, 13
	v_lshrrev_b32_e32 v8, v7, v5
	v_lshlrev_b32_e32 v7, v7, v8
	v_cmp_ne_u32_e32 vcc, v7, v5
	v_cndmask_b32_e64 v5, 0, 1, vcc
	v_or_b32_e32 v5, v8, v5
	v_mul_f16_sdwa v8, v56, v13 dst_sel:DWORD dst_unused:UNUSED_PAD src0_sel:WORD_1 src1_sel:DWORD
	v_fma_f16 v8, v56, v9, -v8
	v_add_u32_e32 v7, 0xfffffc10, v6
	v_cvt_f32_f16_e32 v8, v8
	v_lshl_or_b32 v6, v7, 12, v0
	v_cmp_gt_i32_e32 vcc, 1, v7
	v_cndmask_b32_e32 v5, v6, v5, vcc
	v_and_b32_e32 v6, 7, v5
	v_cmp_lt_i32_e32 vcc, 5, v6
	v_cmp_eq_u32_e64 s[2:3], 3, v6
	v_lshrrev_b32_e32 v9, 2, v5
	v_cvt_f64_f32_e32 v[5:6], v8
	s_or_b64 vcc, s[2:3], vcc
	v_addc_co_u32_e32 v8, vcc, 0, v9, vcc
	v_mul_f64 v[5:6], v[5:6], s[6:7]
	v_cmp_gt_i32_e32 vcc, 31, v7
	v_cndmask_b32_e32 v8, v14, v8, vcc
	v_cmp_ne_u32_e32 vcc, 0, v0
	v_cndmask_b32_e64 v0, 0, 1, vcc
	v_lshl_or_b32 v0, v0, 9, v14
	v_cmp_eq_u32_e32 vcc, s15, v7
	v_cndmask_b32_e32 v0, v8, v0, vcc
	v_lshrrev_b32_e32 v1, 16, v1
	v_and_or_b32 v7, v1, s16, v0
	v_and_or_b32 v0, v6, s17, v5
	v_cmp_ne_u32_e32 vcc, 0, v0
	v_cndmask_b32_e64 v0, 0, 1, vcc
	v_lshrrev_b32_e32 v1, 8, v6
	v_bfe_u32 v5, v6, 20, 11
	v_and_or_b32 v0, v1, s14, v0
	v_sub_u32_e32 v8, 0x3f1, v5
	v_or_b32_e32 v1, 0x1000, v0
	v_med3_i32 v8, v8, 0, 13
	v_lshrrev_b32_e32 v9, v8, v1
	v_lshlrev_b32_e32 v8, v8, v9
	v_cmp_ne_u32_e32 vcc, v8, v1
	v_cndmask_b32_e64 v1, 0, 1, vcc
	v_add_u32_e32 v5, 0xfffffc10, v5
	v_or_b32_e32 v1, v9, v1
	v_lshl_or_b32 v8, v5, 12, v0
	v_cmp_gt_i32_e32 vcc, 1, v5
	v_cndmask_b32_e32 v1, v8, v1, vcc
	v_and_b32_e32 v8, 7, v1
	v_cmp_lt_i32_e32 vcc, 5, v8
	v_cmp_eq_u32_e64 s[2:3], 3, v8
	v_lshrrev_b32_e32 v1, 2, v1
	s_or_b64 vcc, s[2:3], vcc
	v_addc_co_u32_e32 v1, vcc, 0, v1, vcc
	v_cmp_gt_i32_e32 vcc, 31, v5
	v_lshrrev_b32_e32 v9, 16, v18
	v_cndmask_b32_e32 v8, v14, v1, vcc
	v_mul_f16_sdwa v1, v55, v9 dst_sel:DWORD dst_unused:UNUSED_PAD src0_sel:WORD_1 src1_sel:DWORD
	v_fma_f16 v1, v55, v18, v1
	v_cvt_f32_f16_e32 v1, v1
	v_cmp_ne_u32_e32 vcc, 0, v0
	v_cndmask_b32_e64 v0, 0, 1, vcc
	v_lshl_or_b32 v10, v0, 9, v14
	v_cvt_f64_f32_e32 v[0:1], v1
	v_cmp_eq_u32_e32 vcc, s15, v5
	v_cndmask_b32_e32 v5, v8, v10, vcc
	v_lshrrev_b32_e32 v6, 16, v6
	v_mul_f64 v[0:1], v[0:1], s[6:7]
	v_add_co_u32_e32 v3, vcc, s10, v3
	v_and_or_b32 v5, v6, s16, v5
	v_and_b32_e32 v6, 0xffff, v7
	v_addc_co_u32_e32 v4, vcc, v4, v2, vcc
	v_lshl_or_b32 v5, v5, 16, v6
	v_and_or_b32 v0, v1, s17, v0
	v_cmp_ne_u32_e32 vcc, 0, v0
	global_store_dword v[3:4], v5, off
	v_cndmask_b32_e64 v0, 0, 1, vcc
	v_lshrrev_b32_e32 v5, 8, v1
	v_bfe_u32 v6, v1, 20, 11
	v_and_or_b32 v0, v5, s14, v0
	v_sub_u32_e32 v7, 0x3f1, v6
	v_or_b32_e32 v5, 0x1000, v0
	v_med3_i32 v7, v7, 0, 13
	v_lshrrev_b32_e32 v8, v7, v5
	v_lshlrev_b32_e32 v7, v7, v8
	v_cmp_ne_u32_e32 vcc, v7, v5
	v_cndmask_b32_e64 v5, 0, 1, vcc
	v_or_b32_e32 v5, v8, v5
	v_mul_f16_sdwa v8, v55, v18 dst_sel:DWORD dst_unused:UNUSED_PAD src0_sel:WORD_1 src1_sel:DWORD
	v_fma_f16 v8, v55, v9, -v8
	v_add_u32_e32 v7, 0xfffffc10, v6
	v_cvt_f32_f16_e32 v8, v8
	v_lshl_or_b32 v6, v7, 12, v0
	v_cmp_gt_i32_e32 vcc, 1, v7
	v_cndmask_b32_e32 v5, v6, v5, vcc
	v_and_b32_e32 v6, 7, v5
	v_cmp_lt_i32_e32 vcc, 5, v6
	v_cmp_eq_u32_e64 s[2:3], 3, v6
	v_lshrrev_b32_e32 v9, 2, v5
	v_cvt_f64_f32_e32 v[5:6], v8
	s_or_b64 vcc, s[2:3], vcc
	v_addc_co_u32_e32 v8, vcc, 0, v9, vcc
	v_mul_f64 v[5:6], v[5:6], s[6:7]
	v_cmp_gt_i32_e32 vcc, 31, v7
	v_cndmask_b32_e32 v8, v14, v8, vcc
	v_cmp_ne_u32_e32 vcc, 0, v0
	v_cndmask_b32_e64 v0, 0, 1, vcc
	v_lshl_or_b32 v0, v0, 9, v14
	v_cmp_eq_u32_e32 vcc, s15, v7
	v_cndmask_b32_e32 v0, v8, v0, vcc
	v_lshrrev_b32_e32 v1, 16, v1
	v_and_or_b32 v0, v1, s16, v0
	v_and_or_b32 v1, v6, s17, v5
	v_cmp_ne_u32_e32 vcc, 0, v1
	v_cndmask_b32_e64 v1, 0, 1, vcc
	v_lshrrev_b32_e32 v5, 8, v6
	v_bfe_u32 v7, v6, 20, 11
	v_and_or_b32 v1, v5, s14, v1
	v_sub_u32_e32 v8, 0x3f1, v7
	v_or_b32_e32 v5, 0x1000, v1
	v_med3_i32 v8, v8, 0, 13
	v_lshrrev_b32_e32 v9, v8, v5
	v_lshlrev_b32_e32 v8, v8, v9
	v_cmp_ne_u32_e32 vcc, v8, v5
	v_cndmask_b32_e64 v5, 0, 1, vcc
	v_add_u32_e32 v7, 0xfffffc10, v7
	v_or_b32_e32 v5, v9, v5
	v_lshl_or_b32 v8, v7, 12, v1
	v_cmp_gt_i32_e32 vcc, 1, v7
	v_cndmask_b32_e32 v5, v8, v5, vcc
	v_and_b32_e32 v8, 7, v5
	v_cmp_lt_i32_e32 vcc, 5, v8
	v_cmp_eq_u32_e64 s[2:3], 3, v8
	v_lshrrev_b32_e32 v5, 2, v5
	s_or_b64 vcc, s[2:3], vcc
	v_addc_co_u32_e32 v5, vcc, 0, v5, vcc
	v_cmp_gt_i32_e32 vcc, 31, v7
	v_cndmask_b32_e32 v5, v14, v5, vcc
	v_cmp_ne_u32_e32 vcc, 0, v1
	v_cndmask_b32_e64 v1, 0, 1, vcc
	v_lshl_or_b32 v1, v1, 9, v14
	v_cmp_eq_u32_e32 vcc, s15, v7
	v_cndmask_b32_e32 v1, v5, v1, vcc
	v_lshrrev_b32_e32 v5, 16, v6
	v_and_or_b32 v1, v5, s16, v1
	v_and_b32_e32 v0, 0xffff, v0
	v_lshl_or_b32 v5, v1, 16, v0
	v_add_co_u32_e32 v0, vcc, s10, v3
	s_movk_i32 s12, 0x4000
	v_addc_co_u32_e32 v1, vcc, v4, v2, vcc
	global_store_dword v[0:1], v5, off
	s_and_b64 exec, exec, s[0:1]
	s_cbranch_execz .LBB0_25
; %bb.24:
	global_load_dword v3, v[15:16], off offset:1792
	ds_read_b32 v5, v54 offset:1792
	ds_read_b32 v4, v54 offset:4144
	;; [unrolled: 1-line block ×8, first 2 shown]
	s_waitcnt lgkmcnt(7)
	v_lshrrev_b32_e32 v11, 16, v5
	v_add_co_u32_e32 v19, vcc, s18, v15
	v_addc_co_u32_e32 v20, vcc, 0, v16, vcc
	v_add_co_u32_e32 v21, vcc, s4, v0
	s_waitcnt vmcnt(0)
	v_mul_f16_sdwa v12, v11, v3 dst_sel:DWORD dst_unused:UNUSED_PAD src0_sel:DWORD src1_sel:WORD_1
	v_fma_f16 v12, v5, v3, v12
	v_mul_f16_sdwa v5, v5, v3 dst_sel:DWORD dst_unused:UNUSED_PAD src0_sel:DWORD src1_sel:WORD_1
	v_cvt_f32_f16_e32 v12, v12
	v_fma_f16 v3, v3, v11, -v5
	v_cvt_f32_f16_e32 v3, v3
	v_mov_b32_e32 v5, s5
	v_cvt_f64_f32_e32 v[11:12], v12
	v_addc_co_u32_e32 v22, vcc, v1, v5, vcc
	v_cvt_f64_f32_e32 v[17:18], v3
	v_mul_f64 v[11:12], v[11:12], s[6:7]
	v_mul_f64 v[17:18], v[17:18], s[6:7]
	v_and_or_b32 v0, v12, s17, v11
	v_cmp_ne_u32_e32 vcc, 0, v0
	v_lshrrev_b32_e32 v1, 8, v12
	v_and_or_b32 v11, v18, s17, v17
	v_bfe_u32 v3, v12, 20, 11
	v_cndmask_b32_e64 v0, 0, 1, vcc
	v_cmp_ne_u32_e32 vcc, 0, v11
	v_lshrrev_b32_e32 v5, 16, v12
	v_lshrrev_b32_e32 v12, 8, v18
	v_bfe_u32 v13, v18, 20, 11
	v_lshrrev_b32_e32 v17, 16, v18
	v_sub_u32_e32 v18, 0x3f1, v3
	v_cndmask_b32_e64 v11, 0, 1, vcc
	v_and_or_b32 v0, v1, s14, v0
	v_sub_u32_e32 v23, 0x3f1, v13
	v_med3_i32 v1, v18, 0, 13
	v_and_or_b32 v11, v12, s14, v11
	v_or_b32_e32 v18, 0x1000, v0
	v_add_u32_e32 v3, 0xfffffc10, v3
	v_med3_i32 v12, v23, 0, 13
	v_cmp_ne_u32_e32 vcc, 0, v0
	v_or_b32_e32 v24, 0x1000, v11
	v_lshrrev_b32_e32 v26, v1, v18
	v_add_u32_e32 v13, 0xfffffc10, v13
	v_lshl_or_b32 v23, v3, 12, v0
	v_cndmask_b32_e64 v0, 0, 1, vcc
	v_cmp_ne_u32_e32 vcc, 0, v11
	v_lshrrev_b32_e32 v27, v12, v24
	v_lshlrev_b32_e32 v1, v1, v26
	v_lshl_or_b32 v25, v13, 12, v11
	v_cndmask_b32_e64 v11, 0, 1, vcc
	v_lshlrev_b32_e32 v12, v12, v27
	v_cmp_ne_u32_e32 vcc, v1, v18
	v_cndmask_b32_e64 v1, 0, 1, vcc
	v_cmp_ne_u32_e32 vcc, v12, v24
	v_cndmask_b32_e64 v12, 0, 1, vcc
	v_or_b32_e32 v1, v26, v1
	v_cmp_gt_i32_e32 vcc, 1, v3
	v_cndmask_b32_e32 v1, v23, v1, vcc
	v_or_b32_e32 v12, v27, v12
	v_cmp_gt_i32_e32 vcc, 1, v13
	v_and_b32_e32 v18, 7, v1
	v_cndmask_b32_e32 v12, v25, v12, vcc
	v_cmp_lt_i32_e32 vcc, 5, v18
	v_cmp_eq_u32_e64 s[0:1], 3, v18
	v_lshrrev_b32_e32 v1, 2, v1
	v_and_b32_e32 v23, 7, v12
	s_or_b64 vcc, s[0:1], vcc
	v_cmp_lt_i32_e64 s[2:3], 5, v23
	v_cmp_eq_u32_e64 s[4:5], 3, v23
	v_addc_co_u32_e32 v1, vcc, 0, v1, vcc
	v_lshrrev_b32_e32 v12, 2, v12
	s_or_b64 vcc, s[4:5], s[2:3]
	v_addc_co_u32_e32 v12, vcc, 0, v12, vcc
	v_cmp_gt_i32_e32 vcc, 31, v3
	v_cndmask_b32_e32 v1, v14, v1, vcc
	v_cmp_gt_i32_e32 vcc, 31, v13
	v_lshl_or_b32 v0, v0, 9, v14
	v_cndmask_b32_e32 v12, v14, v12, vcc
	v_cmp_eq_u32_e32 vcc, s15, v3
	v_lshl_or_b32 v11, v11, 9, v14
	v_cndmask_b32_e32 v0, v1, v0, vcc
	v_cmp_eq_u32_e32 vcc, s15, v13
	v_cndmask_b32_e32 v1, v12, v11, vcc
	v_and_or_b32 v0, v5, s16, v0
	v_and_or_b32 v1, v17, s16, v1
	v_and_b32_e32 v0, 0xffff, v0
	v_lshl_or_b32 v0, v1, 16, v0
	global_store_dword v[21:22], v0, off
	global_load_dword v0, v[19:20], off offset:48
	s_waitcnt lgkmcnt(6)
	v_lshrrev_b32_e32 v1, 16, v4
	v_add_co_u32_e32 v17, vcc, s10, v21
	s_waitcnt vmcnt(0)
	v_mul_f16_sdwa v3, v1, v0 dst_sel:DWORD dst_unused:UNUSED_PAD src0_sel:DWORD src1_sel:WORD_1
	v_fma_f16 v3, v4, v0, v3
	v_mul_f16_sdwa v4, v4, v0 dst_sel:DWORD dst_unused:UNUSED_PAD src0_sel:DWORD src1_sel:WORD_1
	v_cvt_f32_f16_e32 v3, v3
	v_fma_f16 v0, v0, v1, -v4
	v_cvt_f32_f16_e32 v4, v0
	v_cvt_f64_f32_e32 v[0:1], v3
	v_cvt_f64_f32_e32 v[3:4], v4
	v_mul_f64 v[11:12], v[0:1], s[6:7]
	v_mov_b32_e32 v0, s11
	v_mul_f64 v[3:4], v[3:4], s[6:7]
	v_addc_co_u32_e32 v18, vcc, v22, v0, vcc
	v_and_or_b32 v1, v12, s17, v11
	v_cmp_ne_u32_e32 vcc, 0, v1
	v_and_or_b32 v3, v4, s17, v3
	v_lshrrev_b32_e32 v5, 8, v12
	v_bfe_u32 v11, v12, 20, 11
	v_cndmask_b32_e64 v1, 0, 1, vcc
	v_cmp_ne_u32_e32 vcc, 0, v3
	v_lshrrev_b32_e32 v13, 8, v4
	v_bfe_u32 v21, v4, 20, 11
	v_sub_u32_e32 v22, 0x3f1, v11
	v_cndmask_b32_e64 v3, 0, 1, vcc
	v_and_or_b32 v1, v5, s14, v1
	v_sub_u32_e32 v23, 0x3f1, v21
	v_med3_i32 v5, v22, 0, 13
	v_and_or_b32 v3, v13, s14, v3
	v_or_b32_e32 v22, 0x1000, v1
	v_add_u32_e32 v11, 0xfffffc10, v11
	v_med3_i32 v13, v23, 0, 13
	v_cmp_ne_u32_e32 vcc, 0, v1
	v_or_b32_e32 v24, 0x1000, v3
	v_lshrrev_b32_e32 v26, v5, v22
	v_add_u32_e32 v21, 0xfffffc10, v21
	v_lshl_or_b32 v23, v11, 12, v1
	v_cndmask_b32_e64 v1, 0, 1, vcc
	v_cmp_ne_u32_e32 vcc, 0, v3
	v_lshrrev_b32_e32 v27, v13, v24
	v_lshlrev_b32_e32 v5, v5, v26
	v_lshl_or_b32 v25, v21, 12, v3
	v_cndmask_b32_e64 v3, 0, 1, vcc
	v_lshlrev_b32_e32 v13, v13, v27
	v_cmp_ne_u32_e32 vcc, v5, v22
	v_cndmask_b32_e64 v5, 0, 1, vcc
	v_cmp_ne_u32_e32 vcc, v13, v24
	v_cndmask_b32_e64 v13, 0, 1, vcc
	v_or_b32_e32 v5, v26, v5
	v_cmp_gt_i32_e32 vcc, 1, v11
	v_cndmask_b32_e32 v5, v23, v5, vcc
	v_or_b32_e32 v13, v27, v13
	v_cmp_gt_i32_e32 vcc, 1, v21
	v_and_b32_e32 v22, 7, v5
	v_cndmask_b32_e32 v13, v25, v13, vcc
	v_cmp_lt_i32_e32 vcc, 5, v22
	v_cmp_eq_u32_e64 s[0:1], 3, v22
	v_lshrrev_b32_e32 v5, 2, v5
	v_and_b32_e32 v23, 7, v13
	s_or_b64 vcc, s[0:1], vcc
	v_cmp_lt_i32_e64 s[2:3], 5, v23
	v_cmp_eq_u32_e64 s[4:5], 3, v23
	v_addc_co_u32_e32 v5, vcc, 0, v5, vcc
	v_lshrrev_b32_e32 v13, 2, v13
	s_or_b64 vcc, s[4:5], s[2:3]
	v_addc_co_u32_e32 v13, vcc, 0, v13, vcc
	v_cmp_gt_i32_e32 vcc, 31, v11
	v_cndmask_b32_e32 v5, v14, v5, vcc
	v_cmp_gt_i32_e32 vcc, 31, v21
	v_lshl_or_b32 v1, v1, 9, v14
	v_cndmask_b32_e32 v13, v14, v13, vcc
	v_cmp_eq_u32_e32 vcc, s15, v11
	v_lshrrev_b32_e32 v12, 16, v12
	v_lshl_or_b32 v3, v3, 9, v14
	v_cndmask_b32_e32 v1, v5, v1, vcc
	v_cmp_eq_u32_e32 vcc, s15, v21
	v_lshrrev_b32_e32 v4, 16, v4
	v_cndmask_b32_e32 v3, v13, v3, vcc
	v_and_or_b32 v1, v12, s16, v1
	v_and_or_b32 v3, v4, s16, v3
	v_and_b32_e32 v1, 0xffff, v1
	v_lshl_or_b32 v1, v3, 16, v1
	global_store_dword v[17:18], v1, off
	global_load_dword v1, v[19:20], off offset:2400
	s_waitcnt lgkmcnt(5)
	v_lshrrev_b32_e32 v3, 16, v6
	s_movk_i32 s0, 0x2000
	v_add_co_u32_e32 v11, vcc, s0, v15
	v_addc_co_u32_e32 v12, vcc, 0, v16, vcc
	v_add_co_u32_e32 v17, vcc, s10, v17
	v_addc_co_u32_e32 v18, vcc, v18, v0, vcc
	s_waitcnt vmcnt(0)
	v_mul_f16_sdwa v4, v3, v1 dst_sel:DWORD dst_unused:UNUSED_PAD src0_sel:DWORD src1_sel:WORD_1
	v_fma_f16 v4, v6, v1, v4
	v_mul_f16_sdwa v5, v6, v1 dst_sel:DWORD dst_unused:UNUSED_PAD src0_sel:DWORD src1_sel:WORD_1
	v_cvt_f32_f16_e32 v4, v4
	v_fma_f16 v1, v1, v3, -v5
	v_cvt_f32_f16_e32 v1, v1
	v_cvt_f64_f32_e32 v[3:4], v4
	v_cvt_f64_f32_e32 v[5:6], v1
	v_mul_f64 v[3:4], v[3:4], s[6:7]
	v_mul_f64 v[5:6], v[5:6], s[6:7]
	v_and_or_b32 v1, v4, s17, v3
	v_cmp_ne_u32_e32 vcc, 0, v1
	v_and_or_b32 v5, v6, s17, v5
	v_lshrrev_b32_e32 v3, 8, v4
	v_bfe_u32 v13, v4, 20, 11
	v_cndmask_b32_e64 v1, 0, 1, vcc
	v_cmp_ne_u32_e32 vcc, 0, v5
	v_lshrrev_b32_e32 v19, 8, v6
	v_bfe_u32 v20, v6, 20, 11
	v_sub_u32_e32 v21, 0x3f1, v13
	v_cndmask_b32_e64 v5, 0, 1, vcc
	v_and_or_b32 v1, v3, s14, v1
	v_sub_u32_e32 v22, 0x3f1, v20
	v_med3_i32 v3, v21, 0, 13
	v_and_or_b32 v5, v19, s14, v5
	v_or_b32_e32 v21, 0x1000, v1
	v_add_u32_e32 v13, 0xfffffc10, v13
	v_med3_i32 v19, v22, 0, 13
	v_cmp_ne_u32_e32 vcc, 0, v1
	v_or_b32_e32 v23, 0x1000, v5
	v_lshrrev_b32_e32 v25, v3, v21
	v_add_u32_e32 v20, 0xfffffc10, v20
	v_lshl_or_b32 v22, v13, 12, v1
	v_cndmask_b32_e64 v1, 0, 1, vcc
	v_cmp_ne_u32_e32 vcc, 0, v5
	v_lshrrev_b32_e32 v26, v19, v23
	v_lshlrev_b32_e32 v3, v3, v25
	v_lshl_or_b32 v24, v20, 12, v5
	v_cndmask_b32_e64 v5, 0, 1, vcc
	v_lshlrev_b32_e32 v19, v19, v26
	v_cmp_ne_u32_e32 vcc, v3, v21
	v_cndmask_b32_e64 v3, 0, 1, vcc
	v_cmp_ne_u32_e32 vcc, v19, v23
	v_cndmask_b32_e64 v19, 0, 1, vcc
	v_or_b32_e32 v3, v25, v3
	v_cmp_gt_i32_e32 vcc, 1, v13
	v_cndmask_b32_e32 v3, v22, v3, vcc
	v_or_b32_e32 v19, v26, v19
	v_cmp_gt_i32_e32 vcc, 1, v20
	v_and_b32_e32 v21, 7, v3
	v_cndmask_b32_e32 v19, v24, v19, vcc
	v_cmp_lt_i32_e32 vcc, 5, v21
	v_cmp_eq_u32_e64 s[0:1], 3, v21
	v_lshrrev_b32_e32 v3, 2, v3
	v_and_b32_e32 v22, 7, v19
	s_or_b64 vcc, s[0:1], vcc
	v_cmp_lt_i32_e64 s[2:3], 5, v22
	v_cmp_eq_u32_e64 s[4:5], 3, v22
	v_addc_co_u32_e32 v3, vcc, 0, v3, vcc
	v_lshrrev_b32_e32 v19, 2, v19
	s_or_b64 vcc, s[4:5], s[2:3]
	v_addc_co_u32_e32 v19, vcc, 0, v19, vcc
	v_cmp_gt_i32_e32 vcc, 31, v13
	v_cndmask_b32_e32 v3, v14, v3, vcc
	v_cmp_gt_i32_e32 vcc, 31, v20
	v_lshl_or_b32 v1, v1, 9, v14
	v_cndmask_b32_e32 v19, v14, v19, vcc
	v_cmp_eq_u32_e32 vcc, s15, v13
	v_lshrrev_b32_e32 v4, 16, v4
	v_lshl_or_b32 v5, v5, 9, v14
	v_cndmask_b32_e32 v1, v3, v1, vcc
	v_cmp_eq_u32_e32 vcc, s15, v20
	v_lshrrev_b32_e32 v6, 16, v6
	v_cndmask_b32_e32 v3, v19, v5, vcc
	v_and_or_b32 v1, v4, s16, v1
	v_and_or_b32 v3, v6, s16, v3
	v_and_b32_e32 v1, 0xffff, v1
	v_lshl_or_b32 v1, v3, 16, v1
	global_store_dword v[17:18], v1, off
	global_load_dword v1, v[11:12], off offset:656
	s_waitcnt lgkmcnt(4)
	v_lshrrev_b32_e32 v3, 16, v7
	v_add_co_u32_e32 v17, vcc, s10, v17
	v_addc_co_u32_e32 v18, vcc, v18, v0, vcc
	s_waitcnt vmcnt(0)
	v_mul_f16_sdwa v4, v3, v1 dst_sel:DWORD dst_unused:UNUSED_PAD src0_sel:DWORD src1_sel:WORD_1
	v_fma_f16 v4, v7, v1, v4
	v_mul_f16_sdwa v5, v7, v1 dst_sel:DWORD dst_unused:UNUSED_PAD src0_sel:DWORD src1_sel:WORD_1
	v_cvt_f32_f16_e32 v4, v4
	v_fma_f16 v1, v1, v3, -v5
	v_cvt_f32_f16_e32 v1, v1
	v_cvt_f64_f32_e32 v[3:4], v4
	v_cvt_f64_f32_e32 v[5:6], v1
	v_mul_f64 v[3:4], v[3:4], s[6:7]
	v_mul_f64 v[5:6], v[5:6], s[6:7]
	v_and_or_b32 v1, v4, s17, v3
	v_cmp_ne_u32_e32 vcc, 0, v1
	v_and_or_b32 v5, v6, s17, v5
	v_lshrrev_b32_e32 v3, 8, v4
	v_bfe_u32 v7, v4, 20, 11
	v_cndmask_b32_e64 v1, 0, 1, vcc
	v_cmp_ne_u32_e32 vcc, 0, v5
	v_lshrrev_b32_e32 v13, 8, v6
	v_bfe_u32 v19, v6, 20, 11
	v_sub_u32_e32 v20, 0x3f1, v7
	v_cndmask_b32_e64 v5, 0, 1, vcc
	v_and_or_b32 v1, v3, s14, v1
	v_sub_u32_e32 v21, 0x3f1, v19
	v_med3_i32 v3, v20, 0, 13
	v_and_or_b32 v5, v13, s14, v5
	v_or_b32_e32 v20, 0x1000, v1
	v_add_u32_e32 v7, 0xfffffc10, v7
	v_med3_i32 v13, v21, 0, 13
	v_cmp_ne_u32_e32 vcc, 0, v1
	v_or_b32_e32 v22, 0x1000, v5
	v_lshrrev_b32_e32 v24, v3, v20
	v_add_u32_e32 v19, 0xfffffc10, v19
	v_lshl_or_b32 v21, v7, 12, v1
	v_cndmask_b32_e64 v1, 0, 1, vcc
	v_cmp_ne_u32_e32 vcc, 0, v5
	v_lshrrev_b32_e32 v25, v13, v22
	v_lshlrev_b32_e32 v3, v3, v24
	v_lshl_or_b32 v23, v19, 12, v5
	v_cndmask_b32_e64 v5, 0, 1, vcc
	v_lshlrev_b32_e32 v13, v13, v25
	v_cmp_ne_u32_e32 vcc, v3, v20
	v_cndmask_b32_e64 v3, 0, 1, vcc
	v_cmp_ne_u32_e32 vcc, v13, v22
	v_cndmask_b32_e64 v13, 0, 1, vcc
	v_or_b32_e32 v3, v24, v3
	v_cmp_gt_i32_e32 vcc, 1, v7
	v_cndmask_b32_e32 v3, v21, v3, vcc
	v_or_b32_e32 v13, v25, v13
	v_cmp_gt_i32_e32 vcc, 1, v19
	v_and_b32_e32 v20, 7, v3
	v_cndmask_b32_e32 v13, v23, v13, vcc
	v_cmp_lt_i32_e32 vcc, 5, v20
	v_cmp_eq_u32_e64 s[0:1], 3, v20
	v_lshrrev_b32_e32 v3, 2, v3
	v_and_b32_e32 v21, 7, v13
	s_or_b64 vcc, s[0:1], vcc
	v_cmp_lt_i32_e64 s[2:3], 5, v21
	v_cmp_eq_u32_e64 s[4:5], 3, v21
	v_addc_co_u32_e32 v3, vcc, 0, v3, vcc
	v_lshrrev_b32_e32 v13, 2, v13
	s_or_b64 vcc, s[4:5], s[2:3]
	v_addc_co_u32_e32 v13, vcc, 0, v13, vcc
	v_cmp_gt_i32_e32 vcc, 31, v7
	v_cndmask_b32_e32 v3, v14, v3, vcc
	v_cmp_gt_i32_e32 vcc, 31, v19
	v_lshl_or_b32 v1, v1, 9, v14
	v_cndmask_b32_e32 v13, v14, v13, vcc
	v_cmp_eq_u32_e32 vcc, s15, v7
	v_lshrrev_b32_e32 v4, 16, v4
	v_lshl_or_b32 v5, v5, 9, v14
	v_cndmask_b32_e32 v1, v3, v1, vcc
	v_cmp_eq_u32_e32 vcc, s15, v19
	v_lshrrev_b32_e32 v6, 16, v6
	v_cndmask_b32_e32 v3, v13, v5, vcc
	v_and_or_b32 v1, v4, s16, v1
	v_and_or_b32 v3, v6, s16, v3
	v_and_b32_e32 v1, 0xffff, v1
	v_lshl_or_b32 v1, v3, 16, v1
	global_store_dword v[17:18], v1, off
	global_load_dword v1, v[11:12], off offset:3008
	s_waitcnt lgkmcnt(3)
	v_lshrrev_b32_e32 v3, 16, v8
	s_movk_i32 s0, 0x3000
	v_add_co_u32_e32 v7, vcc, s0, v15
	s_waitcnt vmcnt(0)
	v_mul_f16_sdwa v4, v3, v1 dst_sel:DWORD dst_unused:UNUSED_PAD src0_sel:DWORD src1_sel:WORD_1
	v_fma_f16 v4, v8, v1, v4
	v_mul_f16_sdwa v5, v8, v1 dst_sel:DWORD dst_unused:UNUSED_PAD src0_sel:DWORD src1_sel:WORD_1
	v_cvt_f32_f16_e32 v4, v4
	v_fma_f16 v1, v1, v3, -v5
	v_cvt_f32_f16_e32 v1, v1
	v_addc_co_u32_e32 v8, vcc, 0, v16, vcc
	v_cvt_f64_f32_e32 v[3:4], v4
	v_cvt_f64_f32_e32 v[5:6], v1
	v_add_co_u32_e32 v11, vcc, s10, v17
	v_mul_f64 v[3:4], v[3:4], s[6:7]
	v_mul_f64 v[5:6], v[5:6], s[6:7]
	v_addc_co_u32_e32 v12, vcc, v18, v0, vcc
	v_and_or_b32 v1, v4, s17, v3
	v_and_or_b32 v5, v6, s17, v5
	v_cmp_ne_u32_e32 vcc, 0, v1
	v_lshrrev_b32_e32 v3, 8, v4
	v_bfe_u32 v13, v4, 20, 11
	v_cndmask_b32_e64 v1, 0, 1, vcc
	v_cmp_ne_u32_e32 vcc, 0, v5
	v_lshrrev_b32_e32 v17, 8, v6
	v_bfe_u32 v18, v6, 20, 11
	v_sub_u32_e32 v19, 0x3f1, v13
	v_cndmask_b32_e64 v5, 0, 1, vcc
	v_and_or_b32 v1, v3, s14, v1
	v_sub_u32_e32 v20, 0x3f1, v18
	v_med3_i32 v3, v19, 0, 13
	v_and_or_b32 v5, v17, s14, v5
	v_or_b32_e32 v19, 0x1000, v1
	v_add_u32_e32 v13, 0xfffffc10, v13
	v_med3_i32 v17, v20, 0, 13
	v_cmp_ne_u32_e32 vcc, 0, v1
	v_or_b32_e32 v21, 0x1000, v5
	v_lshrrev_b32_e32 v23, v3, v19
	v_add_u32_e32 v18, 0xfffffc10, v18
	v_lshl_or_b32 v20, v13, 12, v1
	v_cndmask_b32_e64 v1, 0, 1, vcc
	v_cmp_ne_u32_e32 vcc, 0, v5
	v_lshrrev_b32_e32 v24, v17, v21
	v_lshlrev_b32_e32 v3, v3, v23
	v_lshl_or_b32 v22, v18, 12, v5
	v_cndmask_b32_e64 v5, 0, 1, vcc
	v_lshlrev_b32_e32 v17, v17, v24
	v_cmp_ne_u32_e32 vcc, v3, v19
	v_cndmask_b32_e64 v3, 0, 1, vcc
	v_cmp_ne_u32_e32 vcc, v17, v21
	v_cndmask_b32_e64 v17, 0, 1, vcc
	v_or_b32_e32 v3, v23, v3
	v_cmp_gt_i32_e32 vcc, 1, v13
	v_cndmask_b32_e32 v3, v20, v3, vcc
	v_or_b32_e32 v17, v24, v17
	v_cmp_gt_i32_e32 vcc, 1, v18
	v_and_b32_e32 v19, 7, v3
	v_cndmask_b32_e32 v17, v22, v17, vcc
	v_cmp_lt_i32_e32 vcc, 5, v19
	v_cmp_eq_u32_e64 s[0:1], 3, v19
	v_lshrrev_b32_e32 v3, 2, v3
	v_and_b32_e32 v20, 7, v17
	s_or_b64 vcc, s[0:1], vcc
	v_cmp_lt_i32_e64 s[2:3], 5, v20
	v_cmp_eq_u32_e64 s[4:5], 3, v20
	v_addc_co_u32_e32 v3, vcc, 0, v3, vcc
	v_lshrrev_b32_e32 v17, 2, v17
	s_or_b64 vcc, s[4:5], s[2:3]
	v_addc_co_u32_e32 v17, vcc, 0, v17, vcc
	v_cmp_gt_i32_e32 vcc, 31, v13
	v_cndmask_b32_e32 v3, v14, v3, vcc
	v_cmp_gt_i32_e32 vcc, 31, v18
	v_lshl_or_b32 v1, v1, 9, v14
	v_cndmask_b32_e32 v17, v14, v17, vcc
	v_cmp_eq_u32_e32 vcc, s15, v13
	v_lshrrev_b32_e32 v4, 16, v4
	v_lshl_or_b32 v5, v5, 9, v14
	v_cndmask_b32_e32 v1, v3, v1, vcc
	v_cmp_eq_u32_e32 vcc, s15, v18
	v_lshrrev_b32_e32 v6, 16, v6
	v_cndmask_b32_e32 v3, v17, v5, vcc
	v_and_or_b32 v1, v4, s16, v1
	v_and_or_b32 v3, v6, s16, v3
	v_and_b32_e32 v1, 0xffff, v1
	v_lshl_or_b32 v1, v3, 16, v1
	global_store_dword v[11:12], v1, off
	global_load_dword v1, v[7:8], off offset:1264
	s_waitcnt lgkmcnt(2)
	v_lshrrev_b32_e32 v3, 16, v9
	v_add_co_u32_e32 v11, vcc, s10, v11
	v_addc_co_u32_e32 v12, vcc, v12, v0, vcc
	s_waitcnt vmcnt(0)
	v_mul_f16_sdwa v4, v3, v1 dst_sel:DWORD dst_unused:UNUSED_PAD src0_sel:DWORD src1_sel:WORD_1
	v_fma_f16 v4, v9, v1, v4
	v_mul_f16_sdwa v5, v9, v1 dst_sel:DWORD dst_unused:UNUSED_PAD src0_sel:DWORD src1_sel:WORD_1
	v_cvt_f32_f16_e32 v4, v4
	v_fma_f16 v1, v1, v3, -v5
	v_cvt_f32_f16_e32 v1, v1
	v_cvt_f64_f32_e32 v[3:4], v4
	v_cvt_f64_f32_e32 v[5:6], v1
	v_mul_f64 v[3:4], v[3:4], s[6:7]
	v_mul_f64 v[5:6], v[5:6], s[6:7]
	v_and_or_b32 v1, v4, s17, v3
	v_cmp_ne_u32_e32 vcc, 0, v1
	v_and_or_b32 v5, v6, s17, v5
	v_lshrrev_b32_e32 v3, 8, v4
	v_bfe_u32 v9, v4, 20, 11
	v_cndmask_b32_e64 v1, 0, 1, vcc
	v_cmp_ne_u32_e32 vcc, 0, v5
	v_lshrrev_b32_e32 v13, 8, v6
	v_bfe_u32 v17, v6, 20, 11
	v_sub_u32_e32 v18, 0x3f1, v9
	v_cndmask_b32_e64 v5, 0, 1, vcc
	v_and_or_b32 v1, v3, s14, v1
	v_sub_u32_e32 v19, 0x3f1, v17
	v_med3_i32 v3, v18, 0, 13
	v_and_or_b32 v5, v13, s14, v5
	v_or_b32_e32 v18, 0x1000, v1
	v_add_u32_e32 v9, 0xfffffc10, v9
	v_med3_i32 v13, v19, 0, 13
	v_cmp_ne_u32_e32 vcc, 0, v1
	v_or_b32_e32 v20, 0x1000, v5
	v_lshrrev_b32_e32 v22, v3, v18
	v_add_u32_e32 v17, 0xfffffc10, v17
	v_lshl_or_b32 v19, v9, 12, v1
	v_cndmask_b32_e64 v1, 0, 1, vcc
	v_cmp_ne_u32_e32 vcc, 0, v5
	v_lshrrev_b32_e32 v23, v13, v20
	v_lshlrev_b32_e32 v3, v3, v22
	v_lshl_or_b32 v21, v17, 12, v5
	v_cndmask_b32_e64 v5, 0, 1, vcc
	v_lshlrev_b32_e32 v13, v13, v23
	v_cmp_ne_u32_e32 vcc, v3, v18
	v_cndmask_b32_e64 v3, 0, 1, vcc
	v_cmp_ne_u32_e32 vcc, v13, v20
	v_cndmask_b32_e64 v13, 0, 1, vcc
	v_or_b32_e32 v3, v22, v3
	v_cmp_gt_i32_e32 vcc, 1, v9
	v_cndmask_b32_e32 v3, v19, v3, vcc
	v_or_b32_e32 v13, v23, v13
	v_cmp_gt_i32_e32 vcc, 1, v17
	v_and_b32_e32 v18, 7, v3
	v_cndmask_b32_e32 v13, v21, v13, vcc
	v_cmp_lt_i32_e32 vcc, 5, v18
	v_cmp_eq_u32_e64 s[0:1], 3, v18
	v_lshrrev_b32_e32 v3, 2, v3
	v_and_b32_e32 v19, 7, v13
	s_or_b64 vcc, s[0:1], vcc
	v_cmp_lt_i32_e64 s[2:3], 5, v19
	v_cmp_eq_u32_e64 s[4:5], 3, v19
	v_addc_co_u32_e32 v3, vcc, 0, v3, vcc
	v_lshrrev_b32_e32 v13, 2, v13
	s_or_b64 vcc, s[4:5], s[2:3]
	v_addc_co_u32_e32 v13, vcc, 0, v13, vcc
	v_cmp_gt_i32_e32 vcc, 31, v9
	v_cndmask_b32_e32 v3, v14, v3, vcc
	v_cmp_gt_i32_e32 vcc, 31, v17
	v_lshl_or_b32 v1, v1, 9, v14
	v_cndmask_b32_e32 v13, v14, v13, vcc
	v_cmp_eq_u32_e32 vcc, s15, v9
	v_lshrrev_b32_e32 v4, 16, v4
	v_lshl_or_b32 v5, v5, 9, v14
	v_cndmask_b32_e32 v1, v3, v1, vcc
	v_cmp_eq_u32_e32 vcc, s15, v17
	v_lshrrev_b32_e32 v6, 16, v6
	v_cndmask_b32_e32 v3, v13, v5, vcc
	v_and_or_b32 v1, v4, s16, v1
	v_and_or_b32 v3, v6, s16, v3
	v_and_b32_e32 v1, 0xffff, v1
	v_lshl_or_b32 v1, v3, 16, v1
	global_store_dword v[11:12], v1, off
	global_load_dword v1, v[7:8], off offset:3616
	s_waitcnt lgkmcnt(1)
	v_lshrrev_b32_e32 v3, 16, v10
	v_add_co_u32_e32 v7, vcc, s12, v15
	v_addc_co_u32_e32 v8, vcc, 0, v16, vcc
	v_add_co_u32_e32 v9, vcc, s10, v11
	s_waitcnt vmcnt(0)
	v_mul_f16_sdwa v4, v3, v1 dst_sel:DWORD dst_unused:UNUSED_PAD src0_sel:DWORD src1_sel:WORD_1
	v_fma_f16 v4, v10, v1, v4
	v_mul_f16_sdwa v5, v10, v1 dst_sel:DWORD dst_unused:UNUSED_PAD src0_sel:DWORD src1_sel:WORD_1
	v_cvt_f32_f16_e32 v4, v4
	v_fma_f16 v1, v1, v3, -v5
	v_cvt_f32_f16_e32 v1, v1
	v_addc_co_u32_e32 v10, vcc, v12, v0, vcc
	v_cvt_f64_f32_e32 v[3:4], v4
	v_cvt_f64_f32_e32 v[5:6], v1
	v_mul_f64 v[3:4], v[3:4], s[6:7]
	v_mul_f64 v[5:6], v[5:6], s[6:7]
	v_and_or_b32 v1, v4, s17, v3
	v_and_or_b32 v5, v6, s17, v5
	v_cmp_ne_u32_e32 vcc, 0, v1
	v_lshrrev_b32_e32 v3, 8, v4
	v_bfe_u32 v11, v4, 20, 11
	v_cndmask_b32_e64 v1, 0, 1, vcc
	v_cmp_ne_u32_e32 vcc, 0, v5
	v_lshrrev_b32_e32 v12, 8, v6
	v_bfe_u32 v13, v6, 20, 11
	v_sub_u32_e32 v15, 0x3f1, v11
	v_cndmask_b32_e64 v5, 0, 1, vcc
	v_and_or_b32 v1, v3, s14, v1
	v_sub_u32_e32 v16, 0x3f1, v13
	v_med3_i32 v3, v15, 0, 13
	v_and_or_b32 v5, v12, s14, v5
	v_or_b32_e32 v15, 0x1000, v1
	v_add_u32_e32 v11, 0xfffffc10, v11
	v_med3_i32 v12, v16, 0, 13
	v_cmp_ne_u32_e32 vcc, 0, v1
	v_or_b32_e32 v17, 0x1000, v5
	v_lshrrev_b32_e32 v19, v3, v15
	v_add_u32_e32 v13, 0xfffffc10, v13
	v_lshl_or_b32 v16, v11, 12, v1
	v_cndmask_b32_e64 v1, 0, 1, vcc
	v_cmp_ne_u32_e32 vcc, 0, v5
	v_lshrrev_b32_e32 v20, v12, v17
	v_lshlrev_b32_e32 v3, v3, v19
	v_lshl_or_b32 v18, v13, 12, v5
	v_cndmask_b32_e64 v5, 0, 1, vcc
	v_lshlrev_b32_e32 v12, v12, v20
	v_cmp_ne_u32_e32 vcc, v3, v15
	v_cndmask_b32_e64 v3, 0, 1, vcc
	v_cmp_ne_u32_e32 vcc, v12, v17
	v_cndmask_b32_e64 v12, 0, 1, vcc
	v_or_b32_e32 v3, v19, v3
	v_cmp_gt_i32_e32 vcc, 1, v11
	v_cndmask_b32_e32 v3, v16, v3, vcc
	v_or_b32_e32 v12, v20, v12
	v_cmp_gt_i32_e32 vcc, 1, v13
	v_and_b32_e32 v15, 7, v3
	v_cndmask_b32_e32 v12, v18, v12, vcc
	v_cmp_lt_i32_e32 vcc, 5, v15
	v_cmp_eq_u32_e64 s[0:1], 3, v15
	v_lshrrev_b32_e32 v3, 2, v3
	v_and_b32_e32 v16, 7, v12
	s_or_b64 vcc, s[0:1], vcc
	v_cmp_lt_i32_e64 s[2:3], 5, v16
	v_cmp_eq_u32_e64 s[4:5], 3, v16
	v_addc_co_u32_e32 v3, vcc, 0, v3, vcc
	v_lshrrev_b32_e32 v12, 2, v12
	s_or_b64 vcc, s[4:5], s[2:3]
	v_addc_co_u32_e32 v12, vcc, 0, v12, vcc
	v_cmp_gt_i32_e32 vcc, 31, v11
	v_cndmask_b32_e32 v3, v14, v3, vcc
	v_cmp_gt_i32_e32 vcc, 31, v13
	v_lshl_or_b32 v1, v1, 9, v14
	v_cndmask_b32_e32 v12, v14, v12, vcc
	v_cmp_eq_u32_e32 vcc, s15, v11
	v_lshrrev_b32_e32 v4, 16, v4
	v_lshl_or_b32 v5, v5, 9, v14
	v_cndmask_b32_e32 v1, v3, v1, vcc
	v_cmp_eq_u32_e32 vcc, s15, v13
	v_lshrrev_b32_e32 v6, 16, v6
	v_cndmask_b32_e32 v3, v12, v5, vcc
	v_and_or_b32 v1, v4, s16, v1
	v_and_or_b32 v3, v6, s16, v3
	v_and_b32_e32 v1, 0xffff, v1
	v_lshl_or_b32 v1, v3, 16, v1
	global_store_dword v[9:10], v1, off
	global_load_dword v1, v[7:8], off offset:1872
	s_waitcnt lgkmcnt(0)
	v_lshrrev_b32_e32 v3, 16, v2
	s_waitcnt vmcnt(0)
	v_mul_f16_sdwa v4, v3, v1 dst_sel:DWORD dst_unused:UNUSED_PAD src0_sel:DWORD src1_sel:WORD_1
	v_fma_f16 v4, v2, v1, v4
	v_mul_f16_sdwa v2, v2, v1 dst_sel:DWORD dst_unused:UNUSED_PAD src0_sel:DWORD src1_sel:WORD_1
	v_cvt_f32_f16_e32 v4, v4
	v_fma_f16 v1, v1, v3, -v2
	v_cvt_f32_f16_e32 v3, v1
	v_cvt_f64_f32_e32 v[1:2], v4
	v_cvt_f64_f32_e32 v[3:4], v3
	v_mul_f64 v[1:2], v[1:2], s[6:7]
	v_mul_f64 v[3:4], v[3:4], s[6:7]
	v_and_or_b32 v1, v2, s17, v1
	v_cmp_ne_u32_e32 vcc, 0, v1
	v_and_or_b32 v3, v4, s17, v3
	v_lshrrev_b32_e32 v5, 8, v2
	v_bfe_u32 v6, v2, 20, 11
	v_cndmask_b32_e64 v1, 0, 1, vcc
	v_cmp_ne_u32_e32 vcc, 0, v3
	v_lshrrev_b32_e32 v7, 8, v4
	v_bfe_u32 v8, v4, 20, 11
	v_sub_u32_e32 v11, 0x3f1, v6
	v_cndmask_b32_e64 v3, 0, 1, vcc
	v_and_or_b32 v1, v5, s14, v1
	v_sub_u32_e32 v12, 0x3f1, v8
	v_med3_i32 v5, v11, 0, 13
	v_and_or_b32 v3, v7, s14, v3
	v_or_b32_e32 v11, 0x1000, v1
	v_add_u32_e32 v6, 0xfffffc10, v6
	v_med3_i32 v7, v12, 0, 13
	v_cmp_ne_u32_e32 vcc, 0, v1
	v_or_b32_e32 v13, 0x1000, v3
	v_lshrrev_b32_e32 v16, v5, v11
	v_add_u32_e32 v8, 0xfffffc10, v8
	v_lshl_or_b32 v12, v6, 12, v1
	v_cndmask_b32_e64 v1, 0, 1, vcc
	v_cmp_ne_u32_e32 vcc, 0, v3
	v_lshrrev_b32_e32 v17, v7, v13
	v_lshlrev_b32_e32 v5, v5, v16
	v_lshl_or_b32 v15, v8, 12, v3
	v_cndmask_b32_e64 v3, 0, 1, vcc
	v_lshlrev_b32_e32 v7, v7, v17
	v_cmp_ne_u32_e32 vcc, v5, v11
	v_cndmask_b32_e64 v5, 0, 1, vcc
	v_cmp_ne_u32_e32 vcc, v7, v13
	v_cndmask_b32_e64 v7, 0, 1, vcc
	v_or_b32_e32 v5, v16, v5
	v_cmp_gt_i32_e32 vcc, 1, v6
	v_cndmask_b32_e32 v5, v12, v5, vcc
	v_or_b32_e32 v7, v17, v7
	v_cmp_gt_i32_e32 vcc, 1, v8
	v_and_b32_e32 v11, 7, v5
	v_cndmask_b32_e32 v7, v15, v7, vcc
	v_cmp_lt_i32_e32 vcc, 5, v11
	v_cmp_eq_u32_e64 s[0:1], 3, v11
	v_lshrrev_b32_e32 v5, 2, v5
	v_and_b32_e32 v12, 7, v7
	s_or_b64 vcc, s[0:1], vcc
	v_cmp_lt_i32_e64 s[2:3], 5, v12
	v_cmp_eq_u32_e64 s[4:5], 3, v12
	v_addc_co_u32_e32 v5, vcc, 0, v5, vcc
	v_lshrrev_b32_e32 v7, 2, v7
	s_or_b64 vcc, s[4:5], s[2:3]
	v_addc_co_u32_e32 v7, vcc, 0, v7, vcc
	v_cmp_gt_i32_e32 vcc, 31, v6
	v_cndmask_b32_e32 v5, v14, v5, vcc
	v_cmp_gt_i32_e32 vcc, 31, v8
	v_lshl_or_b32 v1, v1, 9, v14
	v_cndmask_b32_e32 v7, v14, v7, vcc
	v_cmp_eq_u32_e32 vcc, s15, v6
	v_lshrrev_b32_e32 v2, 16, v2
	v_lshl_or_b32 v3, v3, 9, v14
	v_cndmask_b32_e32 v1, v5, v1, vcc
	v_cmp_eq_u32_e32 vcc, s15, v8
	v_lshrrev_b32_e32 v4, 16, v4
	v_cndmask_b32_e32 v3, v7, v3, vcc
	v_and_or_b32 v1, v2, s16, v1
	v_and_or_b32 v2, v4, s16, v3
	v_and_b32_e32 v1, 0xffff, v1
	v_lshl_or_b32 v3, v2, 16, v1
	v_add_co_u32_e32 v1, vcc, s10, v9
	v_addc_co_u32_e32 v2, vcc, v10, v0, vcc
	global_store_dword v[1:2], v3, off
.LBB0_25:
	s_endpgm
	.section	.rodata,"a",@progbits
	.p2align	6, 0x0
	.amdhsa_kernel bluestein_single_fwd_len4704_dim1_half_op_CI_CI
		.amdhsa_group_segment_fixed_size 18816
		.amdhsa_private_segment_fixed_size 0
		.amdhsa_kernarg_size 104
		.amdhsa_user_sgpr_count 6
		.amdhsa_user_sgpr_private_segment_buffer 1
		.amdhsa_user_sgpr_dispatch_ptr 0
		.amdhsa_user_sgpr_queue_ptr 0
		.amdhsa_user_sgpr_kernarg_segment_ptr 1
		.amdhsa_user_sgpr_dispatch_id 0
		.amdhsa_user_sgpr_flat_scratch_init 0
		.amdhsa_user_sgpr_private_segment_size 0
		.amdhsa_uses_dynamic_stack 0
		.amdhsa_system_sgpr_private_segment_wavefront_offset 0
		.amdhsa_system_sgpr_workgroup_id_x 1
		.amdhsa_system_sgpr_workgroup_id_y 0
		.amdhsa_system_sgpr_workgroup_id_z 0
		.amdhsa_system_sgpr_workgroup_info 0
		.amdhsa_system_vgpr_workitem_id 0
		.amdhsa_next_free_vgpr 128
		.amdhsa_next_free_sgpr 26
		.amdhsa_reserve_vcc 1
		.amdhsa_reserve_flat_scratch 0
		.amdhsa_float_round_mode_32 0
		.amdhsa_float_round_mode_16_64 0
		.amdhsa_float_denorm_mode_32 3
		.amdhsa_float_denorm_mode_16_64 3
		.amdhsa_dx10_clamp 1
		.amdhsa_ieee_mode 1
		.amdhsa_fp16_overflow 0
		.amdhsa_exception_fp_ieee_invalid_op 0
		.amdhsa_exception_fp_denorm_src 0
		.amdhsa_exception_fp_ieee_div_zero 0
		.amdhsa_exception_fp_ieee_overflow 0
		.amdhsa_exception_fp_ieee_underflow 0
		.amdhsa_exception_fp_ieee_inexact 0
		.amdhsa_exception_int_div_zero 0
	.end_amdhsa_kernel
	.text
.Lfunc_end0:
	.size	bluestein_single_fwd_len4704_dim1_half_op_CI_CI, .Lfunc_end0-bluestein_single_fwd_len4704_dim1_half_op_CI_CI
                                        ; -- End function
	.section	.AMDGPU.csdata,"",@progbits
; Kernel info:
; codeLenInByte = 36008
; NumSgprs: 30
; NumVgprs: 128
; ScratchSize: 0
; MemoryBound: 0
; FloatMode: 240
; IeeeMode: 1
; LDSByteSize: 18816 bytes/workgroup (compile time only)
; SGPRBlocks: 3
; VGPRBlocks: 31
; NumSGPRsForWavesPerEU: 30
; NumVGPRsForWavesPerEU: 128
; Occupancy: 2
; WaveLimiterHint : 1
; COMPUTE_PGM_RSRC2:SCRATCH_EN: 0
; COMPUTE_PGM_RSRC2:USER_SGPR: 6
; COMPUTE_PGM_RSRC2:TRAP_HANDLER: 0
; COMPUTE_PGM_RSRC2:TGID_X_EN: 1
; COMPUTE_PGM_RSRC2:TGID_Y_EN: 0
; COMPUTE_PGM_RSRC2:TGID_Z_EN: 0
; COMPUTE_PGM_RSRC2:TIDIG_COMP_CNT: 0
	.type	__hip_cuid_3de4095124bc1,@object ; @__hip_cuid_3de4095124bc1
	.section	.bss,"aw",@nobits
	.globl	__hip_cuid_3de4095124bc1
__hip_cuid_3de4095124bc1:
	.byte	0                               ; 0x0
	.size	__hip_cuid_3de4095124bc1, 1

	.ident	"AMD clang version 19.0.0git (https://github.com/RadeonOpenCompute/llvm-project roc-6.4.0 25133 c7fe45cf4b819c5991fe208aaa96edf142730f1d)"
	.section	".note.GNU-stack","",@progbits
	.addrsig
	.addrsig_sym __hip_cuid_3de4095124bc1
	.amdgpu_metadata
---
amdhsa.kernels:
  - .args:
      - .actual_access:  read_only
        .address_space:  global
        .offset:         0
        .size:           8
        .value_kind:     global_buffer
      - .actual_access:  read_only
        .address_space:  global
        .offset:         8
        .size:           8
        .value_kind:     global_buffer
      - .actual_access:  read_only
        .address_space:  global
        .offset:         16
        .size:           8
        .value_kind:     global_buffer
      - .actual_access:  read_only
        .address_space:  global
        .offset:         24
        .size:           8
        .value_kind:     global_buffer
      - .actual_access:  read_only
        .address_space:  global
        .offset:         32
        .size:           8
        .value_kind:     global_buffer
      - .offset:         40
        .size:           8
        .value_kind:     by_value
      - .address_space:  global
        .offset:         48
        .size:           8
        .value_kind:     global_buffer
      - .address_space:  global
        .offset:         56
        .size:           8
        .value_kind:     global_buffer
      - .address_space:  global
        .offset:         64
        .size:           8
        .value_kind:     global_buffer
      - .address_space:  global
        .offset:         72
        .size:           8
        .value_kind:     global_buffer
      - .offset:         80
        .size:           4
        .value_kind:     by_value
      - .address_space:  global
        .offset:         88
        .size:           8
        .value_kind:     global_buffer
      - .address_space:  global
        .offset:         96
        .size:           8
        .value_kind:     global_buffer
    .group_segment_fixed_size: 18816
    .kernarg_segment_align: 8
    .kernarg_segment_size: 104
    .language:       OpenCL C
    .language_version:
      - 2
      - 0
    .max_flat_workgroup_size: 224
    .name:           bluestein_single_fwd_len4704_dim1_half_op_CI_CI
    .private_segment_fixed_size: 0
    .sgpr_count:     30
    .sgpr_spill_count: 0
    .symbol:         bluestein_single_fwd_len4704_dim1_half_op_CI_CI.kd
    .uniform_work_group_size: 1
    .uses_dynamic_stack: false
    .vgpr_count:     128
    .vgpr_spill_count: 0
    .wavefront_size: 64
amdhsa.target:   amdgcn-amd-amdhsa--gfx906
amdhsa.version:
  - 1
  - 2
...

	.end_amdgpu_metadata
